;; amdgpu-corpus repo=ROCm/rocFFT kind=compiled arch=gfx90a opt=O3
	.text
	.amdgcn_target "amdgcn-amd-amdhsa--gfx90a"
	.amdhsa_code_object_version 6
	.protected	fft_rtc_fwd_len289_factors_17_17_wgs_119_tpt_17_dp_op_CI_CI_sbrc_xy_z_diag_dirReg ; -- Begin function fft_rtc_fwd_len289_factors_17_17_wgs_119_tpt_17_dp_op_CI_CI_sbrc_xy_z_diag_dirReg
	.globl	fft_rtc_fwd_len289_factors_17_17_wgs_119_tpt_17_dp_op_CI_CI_sbrc_xy_z_diag_dirReg
	.p2align	8
	.type	fft_rtc_fwd_len289_factors_17_17_wgs_119_tpt_17_dp_op_CI_CI_sbrc_xy_z_diag_dirReg,@function
fft_rtc_fwd_len289_factors_17_17_wgs_119_tpt_17_dp_op_CI_CI_sbrc_xy_z_diag_dirReg: ; @fft_rtc_fwd_len289_factors_17_17_wgs_119_tpt_17_dp_op_CI_CI_sbrc_xy_z_diag_dirReg
; %bb.0:
	s_load_dwordx8 s[8:15], s[4:5], 0x0
	s_movk_i32 s33, 0x121
	v_mov_b32_e32 v71, 0
	v_mul_u32_u24_e32 v112, 0x2493, v0
	s_mov_b32 s28, 0x5d8e7cdc
	s_waitcnt lgkmcnt(0)
	s_load_dwordx4 s[0:3], s[12:13], 0x8
	s_load_dwordx4 s[16:19], s[14:15], 0x0
	s_load_dword s7, s[14:15], 0x10
	s_mov_b32 s13, 0
	s_mov_b32 s36, 0x2a9d6da3
	;; [unrolled: 1-line block ×3, first 2 shown]
	s_waitcnt lgkmcnt(0)
	s_add_i32 s1, s2, -1
	s_mul_hi_u32 s2, s1, 0x24924925
	s_sub_i32 s1, s1, s2
	s_lshr_b32 s1, s1, 1
	s_add_i32 s1, s1, s2
	s_lshr_b32 s1, s1, 2
	s_add_i32 s1, s1, 1
	s_mul_i32 s1, s1, s0
	v_cvt_f32_u32_e32 v1, s1
	s_sub_i32 s0, 0, s1
	s_mov_b32 s34, 0xeb564b22
	s_mov_b32 s22, 0x923c349f
	v_rcp_iflag_f32_e32 v1, v1
	s_mov_b32 s26, 0x6c9a05f6
	s_mov_b32 s30, 0x4363dd80
	;; [unrolled: 1-line block ×3, first 2 shown]
	v_mul_f32_e32 v1, 0x4f7ffffe, v1
	v_cvt_u32_f32_e32 v1, v1
	s_mov_b32 s29, 0xbfd71e95
	s_mov_b32 s37, 0xbfe58eea
	;; [unrolled: 1-line block ×3, first 2 shown]
	v_readfirstlane_b32 s2, v1
	s_mul_i32 s0, s0, s2
	s_mul_hi_u32 s0, s2, s0
	s_add_i32 s2, s2, s0
	s_mul_hi_u32 s0, s6, s2
	s_mul_i32 s2, s0, s1
	s_sub_i32 s2, s6, s2
	s_add_i32 s3, s0, 1
	s_sub_i32 s12, s2, s1
	s_cmp_ge_u32 s2, s1
	s_cselect_b32 s0, s3, s0
	s_cselect_b32 s2, s12, s2
	s_add_i32 s3, s0, 1
	s_cmp_ge_u32 s2, s1
	s_cselect_b32 s63, s3, s0
	s_mul_i32 s0, s63, s1
	s_sub_i32 s0, s6, s0
	s_mul_hi_u32 s1, s0, 0xf0f0f0f1
	s_lshr_b32 s1, s1, 4
	s_mul_i32 s2, s1, 17
	s_sub_i32 s62, s0, s2
	s_add_i32 s1, s1, s62
	s_mul_hi_u32 s0, s1, 0xe2c4a689
	s_lshr_b32 s0, s0, 8
	s_mulk_i32 s0, 0x121
	s_mul_i32 s62, s62, 7
	s_sub_i32 s64, s1, s0
	s_mul_i32 s2, s62, s7
	s_mul_i32 s0, s64, s18
	s_lshl_b64 s[10:11], s[10:11], 3
	s_add_i32 s12, s0, s2
	s_add_u32 s18, s14, s10
	s_addc_u32 s19, s15, s11
	s_load_dwordx2 s[20:21], s[18:19], 0x0
	s_load_dwordx4 s[0:3], s[4:5], 0x58
	s_load_dwordx2 s[14:15], s[4:5], 0x20
	v_mad_u64_u32 v[2:3], s[4:5], s16, v0, 0
	s_waitcnt lgkmcnt(0)
	s_mul_i32 s4, s21, s63
	s_mul_hi_u32 s5, s20, s63
	s_add_i32 s5, s5, s4
	s_add_u32 s10, s14, s10
	s_addc_u32 s11, s15, s11
	s_load_dwordx2 s[10:11], s[10:11], 0x0
	s_mul_i32 s4, s20, s63
	s_lshl_b64 s[4:5], s[4:5], 4
	v_mov_b32_e32 v4, v3
	v_mad_u64_u32 v[4:5], s[18:19], s17, v0, v[4:5]
	s_waitcnt lgkmcnt(0)
	s_mul_i32 s6, s11, s63
	s_mul_hi_u32 s11, s10, s63
	s_add_i32 s11, s11, s6
	s_add_u32 s4, s0, s4
	s_addc_u32 s5, s1, s5
	s_lshl_b64 s[0:1], s[12:13], 4
	v_mov_b32_e32 v3, v4
	s_add_u32 s0, s4, s0
	s_addc_u32 s1, s5, s1
	v_lshlrev_b64 v[2:3], 4, v[2:3]
	v_mov_b32_e32 v1, s1
	v_add_co_u32_e32 v10, vcc, s0, v2
	v_addc_co_u32_e32 v11, vcc, v1, v3, vcc
	v_add_u16_e32 v1, 0x77, v0
	v_mad_u64_u32 v[2:3], s[4:5], s16, v1, 0
	v_mov_b32_e32 v4, v3
	v_mad_u64_u32 v[4:5], s[4:5], s17, v1, v[4:5]
	v_mov_b32_e32 v3, v4
	v_lshlrev_b64 v[2:3], 4, v[2:3]
	v_mov_b32_e32 v1, s1
	v_add_co_u32_e32 v12, vcc, s0, v2
	s_mov_b32 s4, 0x16500ee
	v_addc_co_u32_e32 v13, vcc, v1, v3, vcc
	v_pk_add_u16 v1, v0, s4 op_sel_hi:[0,1]
	global_load_dwordx4 v[2:5], v[10:11], off
	global_load_dwordx4 v[6:9], v[12:13], off
	v_and_b32_e32 v10, 0x1ff, v1
	s_movk_i32 s5, 0x717
	v_mul_u32_u24_e32 v10, 0x717, v10
	v_lshrrev_b32_e32 v14, 19, v10
	v_mul_u32_u24_sdwa v10, v1, s5 dst_sel:DWORD dst_unused:UNUSED_PAD src0_sel:WORD_1 src1_sel:DWORD
	v_lshrrev_b32_e32 v15, 19, v10
	s_mov_b32 s4, 0x5040100
	v_perm_b32 v42, v15, v14, s4
	v_pk_mul_lo_u16 v10, v42, s33 op_sel_hi:[1,0]
	v_pk_sub_i16 v43, v1, v10
	v_and_b32_e32 v1, 0xffff, v43
	v_mad_u64_u32 v[10:11], s[18:19], s16, v1, 0
	v_mov_b32_e32 v12, v11
	v_mad_u64_u32 v[12:13], s[18:19], s17, v1, v[12:13]
	v_mov_b32_e32 v11, v12
	v_lshlrev_b64 v[10:11], 4, v[10:11]
	v_mul_lo_u32 v70, s7, v14
	v_mov_b32_e32 v1, s1
	v_add_co_u32_e32 v12, vcc, s0, v10
	v_addc_co_u32_e32 v1, vcc, v1, v11, vcc
	v_lshlrev_b64 v[10:11], 4, v[70:71]
	v_add_co_u32_e32 v18, vcc, v12, v10
	v_addc_co_u32_e32 v19, vcc, v1, v11, vcc
	v_lshrrev_b32_e32 v1, 16, v43
	v_mad_u64_u32 v[10:11], s[18:19], s16, v1, 0
	v_mov_b32_e32 v12, v11
	v_mad_u64_u32 v[12:13], s[18:19], s17, v1, v[12:13]
	v_mov_b32_e32 v11, v12
	v_lshlrev_b64 v[10:11], 4, v[10:11]
	v_mul_lo_u32 v70, s7, v15
	v_mov_b32_e32 v1, s1
	v_add_co_u32_e32 v12, vcc, s0, v10
	v_addc_co_u32_e32 v1, vcc, v1, v11, vcc
	v_lshlrev_b64 v[10:11], 4, v[70:71]
	v_add_co_u32_e32 v20, vcc, v12, v10
	s_mov_b32 s6, 0x25301dc
	v_addc_co_u32_e32 v21, vcc, v1, v11, vcc
	v_pk_add_u16 v1, v0, s6 op_sel_hi:[0,1]
	global_load_dwordx4 v[10:13], v[18:19], off
	global_load_dwordx4 v[14:17], v[20:21], off
	v_and_b32_e32 v18, 0x3ff, v1
	v_mul_u32_u24_e32 v18, 0x717, v18
	v_lshrrev_b32_e32 v22, 19, v18
	v_mul_u32_u24_sdwa v18, v1, s5 dst_sel:DWORD dst_unused:UNUSED_PAD src0_sel:WORD_1 src1_sel:DWORD
	v_lshrrev_b32_e32 v23, 19, v18
	v_perm_b32 v76, v23, v22, s4
	v_pk_mul_lo_u16 v18, v76, s33 op_sel_hi:[1,0]
	v_pk_sub_i16 v77, v1, v18
	v_and_b32_e32 v1, 0xffff, v77
	v_mad_u64_u32 v[18:19], s[18:19], s16, v1, 0
	v_mov_b32_e32 v20, v19
	v_mad_u64_u32 v[20:21], s[18:19], s17, v1, v[20:21]
	v_mov_b32_e32 v19, v20
	v_lshlrev_b64 v[18:19], 4, v[18:19]
	v_mul_lo_u32 v70, s7, v22
	v_mov_b32_e32 v1, s1
	v_add_co_u32_e32 v20, vcc, s0, v18
	v_addc_co_u32_e32 v1, vcc, v1, v19, vcc
	v_lshlrev_b64 v[18:19], 4, v[70:71]
	v_add_co_u32_e32 v26, vcc, v20, v18
	v_addc_co_u32_e32 v27, vcc, v1, v19, vcc
	v_lshrrev_b32_e32 v1, 16, v77
	v_mad_u64_u32 v[18:19], s[18:19], s16, v1, 0
	v_mov_b32_e32 v20, v19
	v_mad_u64_u32 v[20:21], s[18:19], s17, v1, v[20:21]
	v_mov_b32_e32 v19, v20
	v_lshlrev_b64 v[18:19], 4, v[18:19]
	v_mul_lo_u32 v70, s7, v23
	v_mov_b32_e32 v1, s1
	v_add_co_u32_e32 v20, vcc, s0, v18
	v_addc_co_u32_e32 v1, vcc, v1, v19, vcc
	v_lshlrev_b64 v[18:19], 4, v[70:71]
	v_add_co_u32_e32 v28, vcc, v20, v18
	s_mov_b32 s6, 0x34102ca
	v_addc_co_u32_e32 v29, vcc, v1, v19, vcc
	v_pk_add_u16 v1, v0, s6 op_sel_hi:[0,1]
	global_load_dwordx4 v[18:21], v[26:27], off
	global_load_dwordx4 v[22:25], v[28:29], off
	v_and_b32_e32 v26, 0x3ff, v1
	v_mul_u32_u24_e32 v26, 0x717, v26
	v_lshrrev_b32_e32 v30, 19, v26
	v_mul_u32_u24_sdwa v26, v1, s5 dst_sel:DWORD dst_unused:UNUSED_PAD src0_sel:WORD_1 src1_sel:DWORD
	v_lshrrev_b32_e32 v31, 19, v26
	v_perm_b32 v78, v31, v30, s4
	v_pk_mul_lo_u16 v26, v78, s33 op_sel_hi:[1,0]
	v_pk_sub_i16 v79, v1, v26
	v_and_b32_e32 v1, 0xffff, v79
	v_mad_u64_u32 v[26:27], s[18:19], s16, v1, 0
	v_mov_b32_e32 v28, v27
	v_mad_u64_u32 v[28:29], s[18:19], s17, v1, v[28:29]
	v_mov_b32_e32 v27, v28
	v_lshlrev_b64 v[26:27], 4, v[26:27]
	v_mul_lo_u32 v70, s7, v30
	v_mov_b32_e32 v1, s1
	v_add_co_u32_e32 v28, vcc, s0, v26
	v_addc_co_u32_e32 v1, vcc, v1, v27, vcc
	v_lshlrev_b64 v[26:27], 4, v[70:71]
	v_add_co_u32_e32 v34, vcc, v28, v26
	v_addc_co_u32_e32 v35, vcc, v1, v27, vcc
	v_lshrrev_b32_e32 v1, 16, v79
	v_mad_u64_u32 v[26:27], s[18:19], s16, v1, 0
	v_mov_b32_e32 v28, v27
	v_mad_u64_u32 v[28:29], s[18:19], s17, v1, v[28:29]
	v_mov_b32_e32 v27, v28
	v_lshlrev_b64 v[26:27], 4, v[26:27]
	v_mul_lo_u32 v70, s7, v31
	v_mov_b32_e32 v1, s1
	v_add_co_u32_e32 v28, vcc, s0, v26
	v_addc_co_u32_e32 v1, vcc, v1, v27, vcc
	v_lshlrev_b64 v[26:27], 4, v[70:71]
	v_add_co_u32_e32 v36, vcc, v28, v26
	s_mov_b32 s5, 0x42f03b8
	v_addc_co_u32_e32 v37, vcc, v1, v27, vcc
	v_pk_add_u16 v1, v0, s5 op_sel_hi:[0,1]
	global_load_dwordx4 v[26:29], v[34:35], off
	global_load_dwordx4 v[30:33], v[36:37], off
	v_and_b32_e32 v34, 0x7ff, v1
	v_mul_u32_u24_e32 v34, 0x717, v34
	s_movk_i32 s5, 0xe2d
	v_lshrrev_b32_e32 v38, 19, v34
	v_mul_u32_u24_sdwa v34, v1, s5 dst_sel:DWORD dst_unused:UNUSED_PAD src0_sel:WORD_1 src1_sel:DWORD
	v_lshrrev_b32_e32 v39, 20, v34
	v_perm_b32 v80, v39, v38, s4
	v_pk_mul_lo_u16 v34, v80, s33 op_sel_hi:[1,0]
	v_pk_sub_i16 v81, v1, v34
	v_and_b32_e32 v1, 0xffff, v81
	v_mad_u64_u32 v[34:35], s[18:19], s16, v1, 0
	v_mov_b32_e32 v36, v35
	v_mad_u64_u32 v[36:37], s[18:19], s17, v1, v[36:37]
	v_mov_b32_e32 v35, v36
	v_lshlrev_b64 v[34:35], 4, v[34:35]
	v_mul_lo_u32 v70, s7, v38
	v_mov_b32_e32 v1, s1
	v_add_co_u32_e32 v36, vcc, s0, v34
	v_addc_co_u32_e32 v1, vcc, v1, v35, vcc
	v_lshlrev_b64 v[34:35], 4, v[70:71]
	v_add_co_u32_e32 v44, vcc, v36, v34
	v_addc_co_u32_e32 v45, vcc, v1, v35, vcc
	v_lshrrev_b32_e32 v1, 16, v81
	v_mad_u64_u32 v[34:35], s[18:19], s16, v1, 0
	v_mov_b32_e32 v36, v35
	v_mad_u64_u32 v[36:37], s[18:19], s17, v1, v[36:37]
	v_mov_b32_e32 v35, v36
	v_lshlrev_b64 v[34:35], 4, v[34:35]
	v_mul_lo_u32 v70, s7, v39
	v_mov_b32_e32 v1, s1
	v_add_co_u32_e32 v36, vcc, s0, v34
	v_addc_co_u32_e32 v1, vcc, v1, v35, vcc
	v_lshlrev_b64 v[34:35], 4, v[70:71]
	v_add_co_u32_e32 v46, vcc, v36, v34
	s_mov_b32 s6, 0x51d04a6
	v_addc_co_u32_e32 v47, vcc, v1, v35, vcc
	v_pk_add_u16 v1, v0, s6 op_sel_hi:[0,1]
	global_load_dwordx4 v[34:37], v[44:45], off
	global_load_dwordx4 v[38:41], v[46:47], off
	v_and_b32_e32 v44, 0x5ff, v1
	v_mul_u32_u24_e32 v44, 0xe2d, v44
	v_lshrrev_b32_e32 v48, 20, v44
	v_mul_u32_u24_sdwa v44, v1, s5 dst_sel:DWORD dst_unused:UNUSED_PAD src0_sel:WORD_1 src1_sel:DWORD
	v_lshrrev_b32_e32 v49, 20, v44
	v_perm_b32 v82, v49, v48, s4
	v_pk_mul_lo_u16 v44, v82, s33 op_sel_hi:[1,0]
	v_pk_sub_i16 v83, v1, v44
	v_and_b32_e32 v1, 0xffff, v83
	v_mad_u64_u32 v[44:45], s[18:19], s16, v1, 0
	v_mov_b32_e32 v46, v45
	v_mad_u64_u32 v[46:47], s[18:19], s17, v1, v[46:47]
	v_mov_b32_e32 v45, v46
	v_lshlrev_b64 v[44:45], 4, v[44:45]
	v_mul_lo_u32 v70, s7, v48
	v_mov_b32_e32 v1, s1
	v_add_co_u32_e32 v46, vcc, s0, v44
	v_addc_co_u32_e32 v1, vcc, v1, v45, vcc
	v_lshlrev_b64 v[44:45], 4, v[70:71]
	v_add_co_u32_e32 v52, vcc, v46, v44
	v_addc_co_u32_e32 v53, vcc, v1, v45, vcc
	v_lshrrev_b32_e32 v1, 16, v83
	v_mad_u64_u32 v[44:45], s[18:19], s16, v1, 0
	v_mov_b32_e32 v46, v45
	v_mad_u64_u32 v[46:47], s[18:19], s17, v1, v[46:47]
	v_mov_b32_e32 v45, v46
	v_lshlrev_b64 v[44:45], 4, v[44:45]
	v_mul_lo_u32 v70, s7, v49
	v_mov_b32_e32 v1, s1
	v_add_co_u32_e32 v46, vcc, s0, v44
	v_addc_co_u32_e32 v1, vcc, v1, v45, vcc
	v_lshlrev_b64 v[44:45], 4, v[70:71]
	v_add_co_u32_e32 v54, vcc, v46, v44
	s_mov_b32 s6, 0x60b0594
	v_addc_co_u32_e32 v55, vcc, v1, v45, vcc
	v_pk_add_u16 v1, v0, s6 op_sel_hi:[0,1]
	global_load_dwordx4 v[44:47], v[52:53], off
	global_load_dwordx4 v[48:51], v[54:55], off
	v_and_b32_e32 v52, 0x7ff, v1
	v_mul_u32_u24_e32 v52, 0xe2d, v52
	;; [unrolled: 38-line block ×3, first 2 shown]
	v_lshrrev_b32_e32 v64, 20, v60
	v_mul_u32_u24_sdwa v60, v1, s5 dst_sel:DWORD dst_unused:UNUSED_PAD src0_sel:WORD_1 src1_sel:DWORD
	v_lshrrev_b32_e32 v65, 20, v60
	v_perm_b32 v86, v65, v64, s4
	v_pk_mul_lo_u16 v60, v86, s33 op_sel_hi:[1,0]
	v_pk_sub_i16 v87, v1, v60
	v_and_b32_e32 v1, 0xffff, v87
	v_mad_u64_u32 v[60:61], s[4:5], s16, v1, 0
	v_mov_b32_e32 v62, v61
	v_mad_u64_u32 v[62:63], s[4:5], s17, v1, v[62:63]
	v_mov_b32_e32 v61, v62
	v_lshlrev_b64 v[60:61], 4, v[60:61]
	v_mul_lo_u32 v70, s7, v64
	v_mov_b32_e32 v1, s1
	v_add_co_u32_e32 v62, vcc, s0, v60
	v_addc_co_u32_e32 v1, vcc, v1, v61, vcc
	v_lshlrev_b64 v[60:61], 4, v[70:71]
	v_add_co_u32_e32 v68, vcc, v62, v60
	v_addc_co_u32_e32 v69, vcc, v1, v61, vcc
	v_lshrrev_b32_e32 v1, 16, v87
	v_mad_u64_u32 v[60:61], s[4:5], s16, v1, 0
	v_mov_b32_e32 v62, v61
	v_mad_u64_u32 v[62:63], s[4:5], s17, v1, v[62:63]
	v_mov_b32_e32 v61, v62
	v_lshlrev_b64 v[60:61], 4, v[60:61]
	v_mul_lo_u32 v70, s7, v65
	v_mov_b32_e32 v1, s1
	v_add_co_u32_e32 v62, vcc, s0, v60
	v_addc_co_u32_e32 v1, vcc, v1, v61, vcc
	v_lshlrev_b64 v[60:61], 4, v[70:71]
	v_add_co_u32_e32 v72, vcc, v62, v60
	v_addc_co_u32_e32 v73, vcc, v1, v61, vcc
	v_add_u16_e32 v1, 0x770, v0
	global_load_dwordx4 v[60:63], v[68:69], off
	global_load_dwordx4 v[64:67], v[72:73], off
	v_mul_u32_u24_e32 v68, 0x717, v1
	v_lshrrev_b32_e32 v88, 19, v68
	v_mul_lo_u16_e32 v68, 0x121, v88
	v_sub_u16_e32 v89, v1, v68
	v_mad_u64_u32 v[68:69], s[4:5], s16, v89, 0
	v_mov_b32_e32 v70, v69
	v_mad_u64_u32 v[72:73], s[4:5], s17, v89, v[70:71]
	v_mov_b32_e32 v69, v72
	v_lshlrev_b64 v[68:69], 4, v[68:69]
	v_mul_lo_u32 v70, s7, v88
	v_mov_b32_e32 v1, s1
	v_add_co_u32_e32 v72, vcc, s0, v68
	v_addc_co_u32_e32 v1, vcc, v1, v69, vcc
	v_lshlrev_b64 v[68:69], 4, v[70:71]
	v_add_co_u32_e32 v68, vcc, v72, v68
	v_addc_co_u32_e32 v69, vcc, v1, v69, vcc
	global_load_dwordx4 v[72:75], v[68:69], off
	v_mul_lo_u16_e32 v68, 7, v0
	v_lshl_add_u32 v68, v68, 4, 0
	s_waitcnt vmcnt(16)
	ds_write_b128 v68, v[2:5]
	v_mov_b32_e32 v2, 0x341
	v_mad_legacy_u16 v2, v0, 7, v2
	v_lshl_add_u32 v2, v2, 4, 0
	s_waitcnt vmcnt(15)
	ds_write_b128 v2, v[6:9]
	v_pk_mad_u16 v2, v43, 7, v42 op_sel_hi:[1,0,1]
	v_and_b32_e32 v3, 0xffff, v2
	v_bfe_u32 v2, v2, 16, 16
	v_lshl_add_u32 v3, v3, 4, 0
	v_lshl_add_u32 v2, v2, 4, 0
	s_waitcnt vmcnt(14)
	ds_write_b128 v3, v[10:13]
	s_waitcnt vmcnt(13)
	ds_write_b128 v2, v[14:17]
	v_pk_mad_u16 v2, v77, 7, v76 op_sel_hi:[1,0,1]
	v_and_b32_e32 v3, 0xffff, v2
	v_bfe_u32 v2, v2, 16, 16
	v_lshl_add_u32 v3, v3, 4, 0
	v_lshl_add_u32 v2, v2, 4, 0
	s_waitcnt vmcnt(12)
	ds_write_b128 v3, v[18:21]
	;; [unrolled: 9-line block ×6, first 2 shown]
	s_waitcnt vmcnt(3)
	ds_write_b128 v2, v[56:59]
	v_pk_mad_u16 v2, v87, 7, v86 op_sel_hi:[1,0,1]
	v_and_b32_e32 v3, 0xffff, v2
	v_bfe_u32 v2, v2, 16, 16
	v_mov_b32_e32 v1, 7
	v_lshl_add_u32 v3, v3, 4, 0
	v_lshl_add_u32 v2, v2, 4, 0
	v_mul_lo_u16_sdwa v1, v112, v1 dst_sel:DWORD dst_unused:UNUSED_PAD src0_sel:WORD_1 src1_sel:DWORD
	s_waitcnt vmcnt(2)
	ds_write_b128 v3, v[60:63]
	s_waitcnt vmcnt(1)
	ds_write_b128 v2, v[64:67]
	v_mad_legacy_u16 v2, v89, 7, v88
	v_sub_u16_e32 v1, v0, v1
	v_lshl_add_u32 v2, v2, 4, 0
	s_movk_i32 s0, 0x70
	v_lshlrev_b32_e32 v113, 4, v1
	s_load_dwordx4 s[4:7], s[14:15], 0x0
	s_waitcnt lgkmcnt(0)
	s_load_dword s7, s[14:15], 0x10
                                        ; kill: killed $sgpr14 killed $sgpr15
	s_mov_b32 s20, 0x370991
	s_mov_b32 s16, 0x75d4884
	s_mov_b32 s14, 0x2b2883cd
	s_mov_b32 s35, 0xbfefdd0d
	s_mov_b32 s23, 0xbfeec746
	s_mov_b32 s18, 0xc61f0d01
	s_mov_b32 s27, 0xbfe9895b
	s_mov_b32 s24, 0x6ed5f1bb
	s_mov_b32 s31, 0xbfe0d888
	s_mov_b32 s40, 0x910ea3b9
	s_mov_b32 s45, 0xbfc7851a
	s_mov_b32 s42, 0x7faef3
	s_mov_b32 s21, 0x3fedd6d0
	s_mov_b32 s17, 0x3fe7a5f6
	s_waitcnt vmcnt(0)
	ds_write_b128 v2, v[72:75]
	v_mul_u32_u24_sdwa v2, v112, s0 dst_sel:DWORD dst_unused:UNUSED_PAD src0_sel:WORD_1 src1_sel:DWORD
	v_add3_u32 v70, 0, v2, v113
	s_waitcnt lgkmcnt(0)
	s_barrier
	ds_read_b128 v[38:41], v70
	ds_read_b128 v[72:75], v70 offset:1904
	ds_read_b128 v[58:61], v70 offset:3808
	;; [unrolled: 1-line block ×16, first 2 shown]
	s_waitcnt lgkmcnt(14)
	v_add_f64 v[2:3], v[38:39], v[72:73]
	v_add_f64 v[4:5], v[40:41], v[74:75]
	;; [unrolled: 1-line block ×4, first 2 shown]
	s_waitcnt lgkmcnt(13)
	v_add_f64 v[2:3], v[2:3], v[50:51]
	v_add_f64 v[4:5], v[4:5], v[52:53]
	s_waitcnt lgkmcnt(12)
	v_add_f64 v[2:3], v[2:3], v[42:43]
	v_add_f64 v[4:5], v[4:5], v[44:45]
	;; [unrolled: 3-line block ×12, first 2 shown]
	s_waitcnt lgkmcnt(0)
	v_add_f64 v[94:95], v[74:75], -v[78:79]
	s_mov_b32 s0, 0x3259b75e
	v_add_f64 v[2:3], v[2:3], v[62:63]
	v_add_f64 v[4:5], v[4:5], v[64:65]
	;; [unrolled: 1-line block ×3, first 2 shown]
	v_add_f64 v[72:73], v[72:73], -v[76:77]
	v_mul_f64 v[68:69], v[94:95], s[28:29]
	v_mul_f64 v[80:81], v[94:95], s[36:37]
	;; [unrolled: 1-line block ×3, first 2 shown]
	s_mov_b32 s15, 0x3fdc86fa
	v_mul_f64 v[96:97], v[94:95], s[34:35]
	s_mov_b32 s1, 0x3fb79ee6
	v_mul_f64 v[100:101], v[94:95], s[22:23]
	;; [unrolled: 2-line block ×3, first 2 shown]
	s_mov_b32 s25, 0xbfe348c8
	v_add_f64 v[110:111], v[58:59], v[62:63]
	v_add_f64 v[58:59], v[58:59], -v[62:63]
	v_add_f64 v[62:63], v[52:53], v[56:57]
	v_add_f64 v[52:53], v[52:53], -v[56:57]
	;; [unrolled: 2-line block ×3, first 2 shown]
	v_mul_f64 v[46:47], v[94:95], s[30:31]
	s_mov_b32 s41, 0xbfeb34fa
	v_mul_f64 v[94:95], v[94:95], s[44:45]
	s_mov_b32 s43, 0xbfef7484
	v_add_f64 v[4:5], v[4:5], v[78:79]
	v_add_f64 v[66:67], v[74:75], v[78:79]
	v_fma_f64 v[74:75], v[86:87], s[20:21], -v[68:69]
	v_mul_f64 v[78:79], v[72:73], s[28:29]
	v_fmac_f64_e32 v[68:69], s[20:21], v[86:87]
	v_fma_f64 v[82:83], v[86:87], s[16:17], -v[80:81]
	v_mul_f64 v[88:89], v[72:73], s[36:37]
	v_fmac_f64_e32 v[80:81], s[16:17], v[86:87]
	v_fma_f64 v[92:93], v[86:87], s[14:15], -v[90:91]
	v_fmac_f64_e32 v[90:91], s[14:15], v[86:87]
	v_fma_f64 v[98:99], v[86:87], s[0:1], -v[96:97]
	;; [unrolled: 2-line block ×4, first 2 shown]
	v_fmac_f64_e32 v[104:105], s[24:25], v[86:87]
	v_add_f64 v[108:109], v[60:61], v[64:65]
	v_add_f64 v[60:61], v[60:61], -v[64:65]
	v_add_f64 v[64:65], v[50:51], v[54:55]
	v_add_f64 v[50:51], v[50:51], -v[54:55]
	;; [unrolled: 2-line block ×3, first 2 shown]
	v_fma_f64 v[48:49], v[86:87], s[40:41], -v[46:47]
	v_fmac_f64_e32 v[46:47], s[40:41], v[86:87]
	v_fma_f64 v[114:115], v[86:87], s[42:43], -v[94:95]
	v_fmac_f64_e32 v[94:95], s[42:43], v[86:87]
	v_mul_f64 v[86:87], v[72:73], s[38:39]
	v_mul_f64 v[118:119], v[72:73], s[34:35]
	;; [unrolled: 1-line block ×6, first 2 shown]
	v_add_f64 v[2:3], v[2:3], v[76:77]
	v_fma_f64 v[76:77], s[20:21], v[66:67], v[78:79]
	v_fma_f64 v[78:79], v[66:67], s[20:21], -v[78:79]
	v_fma_f64 v[84:85], s[16:17], v[66:67], v[88:89]
	v_fma_f64 v[88:89], v[66:67], s[16:17], -v[88:89]
	;; [unrolled: 2-line block ×8, first 2 shown]
	v_add_f64 v[72:73], v[38:39], v[74:75]
	v_add_f64 v[74:75], v[40:41], v[76:77]
	;; [unrolled: 1-line block ×19, first 2 shown]
	v_mul_f64 v[66:67], v[60:61], s[36:37]
	v_add_f64 v[68:69], v[38:39], v[68:69]
	v_add_f64 v[80:81], v[38:39], v[80:81]
	;; [unrolled: 1-line block ×13, first 2 shown]
	v_fma_f64 v[94:95], v[110:111], s[16:17], -v[66:67]
	v_add_f64 v[72:73], v[94:95], v[72:73]
	v_mul_f64 v[94:95], v[58:59], s[36:37]
	v_fmac_f64_e32 v[66:67], s[16:17], v[110:111]
	v_add_f64 v[66:67], v[66:67], v[68:69]
	v_fma_f64 v[68:69], v[108:109], s[16:17], -v[94:95]
	v_add_f64 v[68:69], v[68:69], v[76:77]
	v_mul_f64 v[76:77], v[60:61], s[34:35]
	v_fma_f64 v[134:135], s[16:17], v[108:109], v[94:95]
	v_fma_f64 v[94:95], v[110:111], s[0:1], -v[76:77]
	v_add_f64 v[78:79], v[94:95], v[78:79]
	v_mul_f64 v[94:95], v[58:59], s[34:35]
	v_fmac_f64_e32 v[76:77], s[0:1], v[110:111]
	v_add_f64 v[76:77], v[76:77], v[80:81]
	v_fma_f64 v[80:81], v[108:109], s[0:1], -v[94:95]
	v_add_f64 v[80:81], v[80:81], v[84:85]
	v_mul_f64 v[84:85], v[60:61], s[26:27]
	v_add_f64 v[74:75], v[134:135], v[74:75]
	v_fma_f64 v[134:135], s[0:1], v[108:109], v[94:95]
	v_fma_f64 v[94:95], v[110:111], s[24:25], -v[84:85]
	v_add_f64 v[88:89], v[94:95], v[88:89]
	v_mul_f64 v[94:95], v[58:59], s[26:27]
	v_fmac_f64_e32 v[84:85], s[24:25], v[110:111]
	v_add_f64 v[84:85], v[84:85], v[90:91]
	v_fma_f64 v[90:91], v[108:109], s[24:25], -v[94:95]
	v_add_f64 v[86:87], v[90:91], v[86:87]
	v_mul_f64 v[90:91], v[60:61], s[44:45]
	v_add_f64 v[82:83], v[134:135], v[82:83]
	v_fma_f64 v[134:135], s[24:25], v[108:109], v[94:95]
	v_fma_f64 v[94:95], v[110:111], s[42:43], -v[90:91]
	v_add_f64 v[94:95], v[94:95], v[98:99]
	v_mul_f64 v[98:99], v[58:59], s[44:45]
	v_fmac_f64_e32 v[90:91], s[42:43], v[110:111]
	s_mov_b32 s55, 0x3fe0d888
	s_mov_b32 s54, s30
	v_add_f64 v[92:93], v[134:135], v[92:93]
	v_fma_f64 v[134:135], s[42:43], v[108:109], v[98:99]
	v_add_f64 v[90:91], v[90:91], v[96:97]
	v_fma_f64 v[96:97], v[108:109], s[42:43], -v[98:99]
	v_mul_f64 v[98:99], v[60:61], s[54:55]
	v_add_f64 v[96:97], v[96:97], v[118:119]
	v_fma_f64 v[118:119], v[110:111], s[40:41], -v[98:99]
	v_add_f64 v[102:103], v[118:119], v[102:103]
	v_mul_f64 v[118:119], v[58:59], s[54:55]
	v_fmac_f64_e32 v[98:99], s[40:41], v[110:111]
	s_mov_b32 s53, 0x3feec746
	s_mov_b32 s52, s22
	v_add_f64 v[116:117], v[134:135], v[116:117]
	v_fma_f64 v[134:135], s[40:41], v[108:109], v[118:119]
	v_add_f64 v[98:99], v[98:99], v[100:101]
	v_fma_f64 v[100:101], v[108:109], s[40:41], -v[118:119]
	v_mul_f64 v[118:119], v[60:61], s[52:53]
	v_add_f64 v[100:101], v[100:101], v[122:123]
	;; [unrolled: 12-line block ×3, first 2 shown]
	v_fma_f64 v[126:127], v[110:111], s[14:15], -v[122:123]
	s_mov_b32 s49, 0x3fd71e95
	s_mov_b32 s48, s28
	v_add_f64 v[48:49], v[126:127], v[48:49]
	v_mul_f64 v[126:127], v[58:59], s[46:47]
	v_fmac_f64_e32 v[122:123], s[14:15], v[110:111]
	v_mul_f64 v[60:61], v[60:61], s[48:49]
	v_add_f64 v[124:125], v[134:135], v[124:125]
	v_fma_f64 v[134:135], s[14:15], v[108:109], v[126:127]
	v_add_f64 v[46:47], v[122:123], v[46:47]
	v_fma_f64 v[122:123], v[108:109], s[14:15], -v[126:127]
	v_fma_f64 v[126:127], v[110:111], s[20:21], -v[60:61]
	v_mul_f64 v[58:59], v[58:59], s[48:49]
	v_add_f64 v[114:115], v[126:127], v[114:115]
	v_fma_f64 v[126:127], s[20:21], v[108:109], v[58:59]
	v_fma_f64 v[58:59], v[108:109], s[20:21], -v[58:59]
	v_fmac_f64_e32 v[60:61], s[20:21], v[110:111]
	v_add_f64 v[40:41], v[58:59], v[40:41]
	v_mul_f64 v[58:59], v[52:53], s[38:39]
	v_add_f64 v[38:39], v[60:61], v[38:39]
	v_fma_f64 v[60:61], v[64:65], s[14:15], -v[58:59]
	v_add_f64 v[60:61], v[60:61], v[72:73]
	v_mul_f64 v[72:73], v[50:51], s[38:39]
	v_fmac_f64_e32 v[58:59], s[14:15], v[64:65]
	v_add_f64 v[58:59], v[58:59], v[66:67]
	v_fma_f64 v[66:67], v[62:63], s[14:15], -v[72:73]
	v_add_f64 v[66:67], v[66:67], v[68:69]
	v_mul_f64 v[68:69], v[52:53], s[26:27]
	v_fma_f64 v[108:109], s[14:15], v[62:63], v[72:73]
	v_fma_f64 v[72:73], v[64:65], s[24:25], -v[68:69]
	v_add_f64 v[72:73], v[72:73], v[78:79]
	v_mul_f64 v[78:79], v[50:51], s[26:27]
	v_fmac_f64_e32 v[68:69], s[24:25], v[64:65]
	s_mov_b32 s61, 0x3fc7851a
	s_mov_b32 s60, s44
	v_add_f64 v[74:75], v[108:109], v[74:75]
	v_fma_f64 v[108:109], s[24:25], v[62:63], v[78:79]
	v_add_f64 v[68:69], v[68:69], v[76:77]
	v_fma_f64 v[76:77], v[62:63], s[24:25], -v[78:79]
	v_mul_f64 v[78:79], v[52:53], s[60:61]
	v_add_f64 v[76:77], v[76:77], v[80:81]
	v_fma_f64 v[80:81], v[64:65], s[42:43], -v[78:79]
	v_add_f64 v[80:81], v[80:81], v[88:89]
	v_mul_f64 v[88:89], v[50:51], s[60:61]
	v_fmac_f64_e32 v[78:79], s[42:43], v[64:65]
	v_add_f64 v[78:79], v[78:79], v[84:85]
	v_fma_f64 v[84:85], v[62:63], s[42:43], -v[88:89]
	v_add_f64 v[84:85], v[84:85], v[86:87]
	v_mul_f64 v[86:87], v[52:53], s[52:53]
	v_add_f64 v[82:83], v[108:109], v[82:83]
	v_fma_f64 v[108:109], s[42:43], v[62:63], v[88:89]
	v_fma_f64 v[88:89], v[64:65], s[18:19], -v[86:87]
	v_add_f64 v[88:89], v[88:89], v[94:95]
	v_mul_f64 v[94:95], v[50:51], s[52:53]
	v_fmac_f64_e32 v[86:87], s[18:19], v[64:65]
	s_mov_b32 s51, 0x3fe58eea
	s_mov_b32 s50, s36
	v_add_f64 v[92:93], v[108:109], v[92:93]
	v_fma_f64 v[108:109], s[18:19], v[62:63], v[94:95]
	v_add_f64 v[86:87], v[86:87], v[90:91]
	v_fma_f64 v[90:91], v[62:63], s[18:19], -v[94:95]
	v_mul_f64 v[94:95], v[52:53], s[50:51]
	v_add_f64 v[90:91], v[90:91], v[96:97]
	v_fma_f64 v[96:97], v[64:65], s[16:17], -v[94:95]
	v_add_f64 v[96:97], v[96:97], v[102:103]
	v_mul_f64 v[102:103], v[50:51], s[50:51]
	v_fmac_f64_e32 v[94:95], s[16:17], v[64:65]
	v_add_f64 v[94:95], v[94:95], v[98:99]
	v_fma_f64 v[98:99], v[62:63], s[16:17], -v[102:103]
	v_add_f64 v[98:99], v[98:99], v[100:101]
	v_mul_f64 v[100:101], v[52:53], s[28:29]
	v_fma_f64 v[110:111], s[16:17], v[62:63], v[102:103]
	v_fma_f64 v[102:103], v[64:65], s[20:21], -v[100:101]
	v_add_f64 v[102:103], v[102:103], v[106:107]
	v_mul_f64 v[106:107], v[50:51], s[28:29]
	v_fmac_f64_e32 v[100:101], s[20:21], v[64:65]
	v_add_f64 v[108:109], v[108:109], v[116:117]
	v_fma_f64 v[116:117], s[20:21], v[62:63], v[106:107]
	v_add_f64 v[100:101], v[100:101], v[104:105]
	v_fma_f64 v[104:105], v[62:63], s[20:21], -v[106:107]
	v_mul_f64 v[106:107], v[52:53], s[34:35]
	v_add_f64 v[104:105], v[104:105], v[118:119]
	v_fma_f64 v[118:119], v[64:65], s[0:1], -v[106:107]
	v_add_f64 v[48:49], v[118:119], v[48:49]
	v_mul_f64 v[118:119], v[50:51], s[34:35]
	v_fmac_f64_e32 v[106:107], s[0:1], v[64:65]
	v_mul_f64 v[52:53], v[52:53], s[30:31]
	v_add_f64 v[110:111], v[110:111], v[120:121]
	v_fma_f64 v[120:121], s[0:1], v[62:63], v[118:119]
	v_add_f64 v[46:47], v[106:107], v[46:47]
	v_fma_f64 v[106:107], v[62:63], s[0:1], -v[118:119]
	v_fma_f64 v[118:119], v[64:65], s[40:41], -v[52:53]
	v_mul_f64 v[50:51], v[50:51], s[30:31]
	v_add_f64 v[114:115], v[118:119], v[114:115]
	v_fma_f64 v[118:119], s[40:41], v[62:63], v[50:51]
	v_fma_f64 v[50:51], v[62:63], s[40:41], -v[50:51]
	v_fmac_f64_e32 v[52:53], s[40:41], v[64:65]
	v_add_f64 v[40:41], v[50:51], v[40:41]
	v_mul_f64 v[50:51], v[44:45], s[34:35]
	v_add_f64 v[38:39], v[52:53], v[38:39]
	v_fma_f64 v[52:53], v[56:57], s[0:1], -v[50:51]
	v_add_f64 v[52:53], v[52:53], v[60:61]
	v_mul_f64 v[60:61], v[42:43], s[34:35]
	v_fmac_f64_e32 v[50:51], s[0:1], v[56:57]
	v_fma_f64 v[62:63], s[0:1], v[54:55], v[60:61]
	v_add_f64 v[50:51], v[50:51], v[58:59]
	v_fma_f64 v[58:59], v[54:55], s[0:1], -v[60:61]
	v_mul_f64 v[60:61], v[44:45], s[44:45]
	v_add_f64 v[58:59], v[58:59], v[66:67]
	v_fma_f64 v[64:65], v[56:57], s[42:43], -v[60:61]
	v_mul_f64 v[66:67], v[42:43], s[44:45]
	v_fmac_f64_e32 v[60:61], s[42:43], v[56:57]
	v_add_f64 v[64:65], v[64:65], v[72:73]
	v_fma_f64 v[72:73], s[42:43], v[54:55], v[66:67]
	v_add_f64 v[60:61], v[60:61], v[68:69]
	v_fma_f64 v[66:67], v[54:55], s[42:43], -v[66:67]
	v_mul_f64 v[68:69], v[44:45], s[52:53]
	v_add_f64 v[62:63], v[62:63], v[74:75]
	v_add_f64 v[66:67], v[66:67], v[76:77]
	v_fma_f64 v[74:75], v[56:57], s[18:19], -v[68:69]
	v_mul_f64 v[76:77], v[42:43], s[52:53]
	v_fmac_f64_e32 v[68:69], s[18:19], v[56:57]
	v_add_f64 v[74:75], v[74:75], v[80:81]
	v_fma_f64 v[80:81], s[18:19], v[54:55], v[76:77]
	v_add_f64 v[68:69], v[68:69], v[78:79]
	v_fma_f64 v[76:77], v[54:55], s[18:19], -v[76:77]
	v_mul_f64 v[78:79], v[44:45], s[48:49]
	v_add_f64 v[72:73], v[72:73], v[82:83]
	;; [unrolled: 10-line block ×4, first 2 shown]
	v_fma_f64 v[98:99], v[56:57], s[40:41], -v[94:95]
	v_add_f64 v[98:99], v[98:99], v[102:103]
	v_mul_f64 v[102:103], v[42:43], s[30:31]
	v_fmac_f64_e32 v[94:95], s[40:41], v[56:57]
	s_mov_b32 s57, 0x3fe9895b
	s_mov_b32 s56, s26
	v_add_f64 v[88:89], v[88:89], v[108:109]
	v_fma_f64 v[108:109], s[40:41], v[54:55], v[102:103]
	v_add_f64 v[94:95], v[94:95], v[100:101]
	v_fma_f64 v[100:101], v[54:55], s[40:41], -v[102:103]
	v_mul_f64 v[102:103], v[44:45], s[56:57]
	v_add_f64 v[100:101], v[100:101], v[104:105]
	v_fma_f64 v[104:105], v[56:57], s[24:25], -v[102:103]
	v_add_f64 v[122:123], v[122:123], v[130:131]
	v_add_f64 v[48:49], v[104:105], v[48:49]
	v_mul_f64 v[104:105], v[42:43], s[56:57]
	v_fmac_f64_e32 v[102:103], s[24:25], v[56:57]
	v_mul_f64 v[44:45], v[44:45], s[50:51]
	v_add_f64 v[106:107], v[106:107], v[122:123]
	v_add_f64 v[96:97], v[96:97], v[110:111]
	v_fma_f64 v[110:111], s[24:25], v[54:55], v[104:105]
	v_add_f64 v[46:47], v[102:103], v[46:47]
	v_fma_f64 v[102:103], v[54:55], s[24:25], -v[104:105]
	v_fma_f64 v[104:105], v[56:57], s[16:17], -v[44:45]
	v_mul_f64 v[42:43], v[42:43], s[50:51]
	v_fmac_f64_e32 v[44:45], s[16:17], v[56:57]
	v_add_f64 v[102:103], v[102:103], v[106:107]
	v_fma_f64 v[106:107], s[16:17], v[54:55], v[42:43]
	v_add_f64 v[38:39], v[44:45], v[38:39]
	v_fma_f64 v[42:43], v[54:55], s[16:17], -v[42:43]
	v_add_f64 v[44:45], v[32:33], v[36:37]
	v_add_f64 v[32:33], v[32:33], -v[36:37]
	v_add_f64 v[40:41], v[42:43], v[40:41]
	v_add_f64 v[42:43], v[30:31], v[34:35]
	v_add_f64 v[30:31], v[30:31], -v[34:35]
	v_mul_f64 v[34:35], v[32:33], s[22:23]
	v_fma_f64 v[36:37], v[42:43], s[18:19], -v[34:35]
	v_add_f64 v[36:37], v[36:37], v[52:53]
	v_mul_f64 v[52:53], v[30:31], s[22:23]
	v_fmac_f64_e32 v[34:35], s[18:19], v[42:43]
	v_fma_f64 v[54:55], s[18:19], v[44:45], v[52:53]
	v_add_f64 v[34:35], v[34:35], v[50:51]
	v_fma_f64 v[50:51], v[44:45], s[18:19], -v[52:53]
	v_mul_f64 v[52:53], v[32:33], s[54:55]
	v_fma_f64 v[56:57], v[42:43], s[40:41], -v[52:53]
	v_fmac_f64_e32 v[52:53], s[40:41], v[42:43]
	v_add_f64 v[52:53], v[52:53], v[60:61]
	v_mul_f64 v[60:61], v[32:33], s[50:51]
	v_add_f64 v[56:57], v[56:57], v[64:65]
	v_fma_f64 v[64:65], v[42:43], s[16:17], -v[60:61]
	v_fmac_f64_e32 v[60:61], s[16:17], v[42:43]
	v_add_f64 v[60:61], v[60:61], v[68:69]
	v_mul_f64 v[68:69], v[32:33], s[38:39]
	v_add_f64 v[50:51], v[50:51], v[58:59]
	v_mul_f64 v[58:59], v[30:31], s[54:55]
	v_add_f64 v[64:65], v[64:65], v[74:75]
	v_fma_f64 v[74:75], v[42:43], s[14:15], -v[68:69]
	v_fmac_f64_e32 v[68:69], s[14:15], v[42:43]
	v_add_f64 v[54:55], v[54:55], v[62:63]
	v_fma_f64 v[62:63], s[40:41], v[44:45], v[58:59]
	v_fma_f64 v[58:59], v[44:45], s[40:41], -v[58:59]
	v_add_f64 v[68:69], v[68:69], v[78:79]
	v_mul_f64 v[78:79], v[32:33], s[44:45]
	v_add_f64 v[58:59], v[58:59], v[66:67]
	v_mul_f64 v[66:67], v[30:31], s[50:51]
	v_add_f64 v[74:75], v[74:75], v[82:83]
	v_fma_f64 v[82:83], v[42:43], s[42:43], -v[78:79]
	v_fmac_f64_e32 v[78:79], s[42:43], v[42:43]
	s_mov_b32 s59, 0x3fefdd0d
	s_mov_b32 s58, s34
	v_add_f64 v[62:63], v[62:63], v[72:73]
	v_fma_f64 v[72:73], s[16:17], v[44:45], v[66:67]
	v_fma_f64 v[66:67], v[44:45], s[16:17], -v[66:67]
	v_add_f64 v[78:79], v[78:79], v[86:87]
	v_mul_f64 v[86:87], v[32:33], s[58:59]
	v_add_f64 v[66:67], v[66:67], v[76:77]
	v_mul_f64 v[76:77], v[30:31], s[38:39]
	v_add_f64 v[82:83], v[82:83], v[90:91]
	v_fma_f64 v[90:91], v[42:43], s[0:1], -v[86:87]
	v_fmac_f64_e32 v[86:87], s[0:1], v[42:43]
	v_add_f64 v[72:73], v[72:73], v[80:81]
	v_fma_f64 v[80:81], s[14:15], v[44:45], v[76:77]
	v_fma_f64 v[76:77], v[44:45], s[14:15], -v[76:77]
	v_add_f64 v[86:87], v[86:87], v[94:95]
	v_mul_f64 v[94:95], v[32:33], s[28:29]
	v_add_f64 v[76:77], v[76:77], v[84:85]
	v_mul_f64 v[84:85], v[30:31], s[44:45]
	v_add_f64 v[90:91], v[90:91], v[98:99]
	v_fma_f64 v[98:99], v[42:43], s[20:21], -v[94:95]
	v_add_f64 v[80:81], v[80:81], v[88:89]
	v_fma_f64 v[88:89], s[42:43], v[44:45], v[84:85]
	v_fma_f64 v[84:85], v[44:45], s[42:43], -v[84:85]
	v_add_f64 v[48:49], v[98:99], v[48:49]
	v_mul_f64 v[98:99], v[30:31], s[28:29]
	v_fmac_f64_e32 v[94:95], s[20:21], v[42:43]
	v_add_f64 v[84:85], v[84:85], v[92:93]
	v_mul_f64 v[92:93], v[30:31], s[58:59]
	v_add_f64 v[46:47], v[94:95], v[46:47]
	v_fma_f64 v[94:95], v[44:45], s[20:21], -v[98:99]
	v_mul_f64 v[30:31], v[30:31], s[26:27]
	v_add_f64 v[88:89], v[88:89], v[96:97]
	v_fma_f64 v[96:97], s[0:1], v[44:45], v[92:93]
	v_fma_f64 v[92:93], v[44:45], s[0:1], -v[92:93]
	v_add_f64 v[94:95], v[94:95], v[102:103]
	v_mul_f64 v[32:33], v[32:33], s[26:27]
	v_fma_f64 v[102:103], s[24:25], v[44:45], v[30:31]
	v_fma_f64 v[30:31], v[44:45], s[24:25], -v[30:31]
	v_add_f64 v[92:93], v[92:93], v[100:101]
	v_fma_f64 v[100:101], s[20:21], v[44:45], v[98:99]
	v_fma_f64 v[98:99], v[42:43], s[24:25], -v[32:33]
	v_fmac_f64_e32 v[32:33], s[24:25], v[42:43]
	v_add_f64 v[30:31], v[30:31], v[40:41]
	v_add_f64 v[40:41], v[24:25], v[28:29]
	v_add_f64 v[24:25], v[24:25], -v[28:29]
	v_add_f64 v[32:33], v[32:33], v[38:39]
	v_add_f64 v[38:39], v[22:23], v[26:27]
	v_add_f64 v[22:23], v[22:23], -v[26:27]
	v_mul_f64 v[26:27], v[24:25], s[26:27]
	v_fma_f64 v[28:29], v[38:39], s[24:25], -v[26:27]
	v_add_f64 v[28:29], v[28:29], v[36:37]
	v_mul_f64 v[36:37], v[22:23], s[26:27]
	v_fmac_f64_e32 v[26:27], s[24:25], v[38:39]
	v_fma_f64 v[42:43], s[24:25], v[40:41], v[36:37]
	v_add_f64 v[26:27], v[26:27], v[34:35]
	v_fma_f64 v[34:35], v[40:41], s[24:25], -v[36:37]
	v_mul_f64 v[36:37], v[24:25], s[52:53]
	v_add_f64 v[34:35], v[34:35], v[50:51]
	v_fma_f64 v[44:45], v[38:39], s[18:19], -v[36:37]
	v_mul_f64 v[50:51], v[22:23], s[52:53]
	v_fmac_f64_e32 v[36:37], s[18:19], v[38:39]
	v_add_f64 v[42:43], v[42:43], v[54:55]
	v_fma_f64 v[54:55], s[18:19], v[40:41], v[50:51]
	v_add_f64 v[36:37], v[36:37], v[52:53]
	v_fma_f64 v[50:51], v[40:41], s[18:19], -v[50:51]
	v_mul_f64 v[52:53], v[24:25], s[28:29]
	v_add_f64 v[44:45], v[44:45], v[56:57]
	v_add_f64 v[50:51], v[50:51], v[58:59]
	v_fma_f64 v[56:57], v[38:39], s[20:21], -v[52:53]
	v_mul_f64 v[58:59], v[22:23], s[28:29]
	v_fmac_f64_e32 v[52:53], s[20:21], v[38:39]
	v_add_f64 v[54:55], v[54:55], v[62:63]
	v_fma_f64 v[62:63], s[20:21], v[40:41], v[58:59]
	v_add_f64 v[52:53], v[52:53], v[60:61]
	v_fma_f64 v[58:59], v[40:41], s[20:21], -v[58:59]
	v_mul_f64 v[60:61], v[24:25], s[30:31]
	v_add_f64 v[56:57], v[56:57], v[64:65]
	;; [unrolled: 10-line block ×3, first 2 shown]
	v_add_f64 v[66:67], v[66:67], v[76:77]
	v_fma_f64 v[74:75], v[38:39], s[0:1], -v[68:69]
	v_mul_f64 v[76:77], v[22:23], s[58:59]
	v_fmac_f64_e32 v[68:69], s[0:1], v[38:39]
	v_add_f64 v[72:73], v[72:73], v[80:81]
	v_fma_f64 v[80:81], s[0:1], v[40:41], v[76:77]
	v_add_f64 v[68:69], v[68:69], v[78:79]
	v_mul_f64 v[78:79], v[24:25], s[36:37]
	v_add_f64 v[88:89], v[80:81], v[88:89]
	v_fma_f64 v[80:81], v[38:39], s[16:17], -v[78:79]
	v_add_f64 v[128:129], v[134:135], v[128:129]
	v_add_f64 v[126:127], v[126:127], v[132:133]
	;; [unrolled: 1-line block ×4, first 2 shown]
	v_mul_f64 v[80:81], v[22:23], s[36:37]
	v_fmac_f64_e32 v[78:79], s[16:17], v[38:39]
	v_add_f64 v[120:121], v[120:121], v[128:129]
	v_add_f64 v[118:119], v[118:119], v[126:127]
	;; [unrolled: 1-line block ×4, first 2 shown]
	v_fma_f64 v[78:79], v[40:41], s[16:17], -v[80:81]
	v_add_f64 v[116:117], v[116:117], v[124:125]
	v_add_f64 v[110:111], v[110:111], v[120:121]
	;; [unrolled: 1-line block ×4, first 2 shown]
	v_mul_f64 v[78:79], v[24:25], s[44:45]
	v_add_f64 v[118:119], v[16:17], -v[20:21]
	v_add_f64 v[108:109], v[108:109], v[116:117]
	v_add_f64 v[100:101], v[100:101], v[110:111]
	;; [unrolled: 1-line block ×3, first 2 shown]
	v_fma_f64 v[82:83], s[16:17], v[40:41], v[80:81]
	v_fma_f64 v[80:81], v[38:39], s[42:43], -v[78:79]
	v_add_f64 v[110:111], v[14:15], v[18:19]
	v_add_f64 v[116:117], v[14:15], -v[18:19]
	v_mul_f64 v[14:15], v[118:119], s[30:31]
	v_add_f64 v[96:97], v[96:97], v[108:109]
	v_add_f64 v[48:49], v[80:81], v[48:49]
	v_mul_f64 v[80:81], v[22:23], s[44:45]
	v_add_f64 v[114:115], v[16:17], v[20:21]
	v_fma_f64 v[16:17], v[110:111], s[40:41], -v[14:15]
	v_add_f64 v[96:97], v[82:83], v[96:97]
	v_fma_f64 v[82:83], s[42:43], v[40:41], v[80:81]
	v_add_f64 v[86:87], v[16:17], v[28:29]
	v_mul_f64 v[16:17], v[116:117], s[30:31]
	v_fmac_f64_e32 v[14:15], s[40:41], v[110:111]
	v_add_f64 v[100:101], v[82:83], v[100:101]
	v_fmac_f64_e32 v[78:79], s[42:43], v[38:39]
	v_add_f64 v[82:83], v[14:15], v[26:27]
	v_fma_f64 v[14:15], v[114:115], s[40:41], -v[16:17]
	v_add_f64 v[46:47], v[78:79], v[46:47]
	v_fma_f64 v[78:79], v[40:41], s[42:43], -v[80:81]
	v_mul_f64 v[24:25], v[24:25], s[46:47]
	v_add_f64 v[80:81], v[14:15], v[34:35]
	v_mul_f64 v[14:15], v[118:119], s[46:47]
	v_fma_f64 v[76:77], v[40:41], s[0:1], -v[76:77]
	v_add_f64 v[94:95], v[78:79], v[94:95]
	v_fma_f64 v[78:79], v[38:39], s[14:15], -v[24:25]
	v_mul_f64 v[22:23], v[22:23], s[46:47]
	v_fma_f64 v[18:19], s[40:41], v[114:115], v[16:17]
	v_fma_f64 v[16:17], v[110:111], s[14:15], -v[14:15]
	v_add_f64 v[76:77], v[76:77], v[84:85]
	v_add_f64 v[98:99], v[78:79], v[98:99]
	v_fma_f64 v[78:79], s[14:15], v[40:41], v[22:23]
	v_fma_f64 v[22:23], v[40:41], s[14:15], -v[22:23]
	v_add_f64 v[84:85], v[18:19], v[42:43]
	v_add_f64 v[18:19], v[16:17], v[44:45]
	v_mul_f64 v[16:17], v[116:117], s[46:47]
	v_fmac_f64_e32 v[24:25], s[14:15], v[38:39]
	v_add_f64 v[108:109], v[22:23], v[30:31]
	v_fma_f64 v[20:21], s[14:15], v[114:115], v[16:17]
	v_fma_f64 v[16:17], v[114:115], s[14:15], -v[16:17]
	v_mul_f64 v[22:23], v[118:119], s[34:35]
	v_add_f64 v[102:103], v[102:103], v[106:107]
	v_add_f64 v[106:107], v[24:25], v[32:33]
	;; [unrolled: 1-line block ×3, first 2 shown]
	v_fma_f64 v[24:25], v[110:111], s[0:1], -v[22:23]
	v_fmac_f64_e32 v[22:23], s[0:1], v[110:111]
	v_mul_f64 v[30:31], v[118:119], s[56:57]
	v_mul_f64 v[50:51], v[118:119], s[44:45]
	v_add_f64 v[22:23], v[22:23], v[52:53]
	v_fma_f64 v[32:33], v[110:111], s[24:25], -v[30:31]
	v_mul_f64 v[38:39], v[118:119], s[28:29]
	v_fma_f64 v[52:53], v[110:111], s[42:43], -v[50:51]
	v_add_f64 v[102:103], v[78:79], v[102:103]
	v_fmac_f64_e32 v[14:15], s[14:15], v[110:111]
	v_add_f64 v[34:35], v[32:33], v[64:65]
	v_mul_f64 v[32:33], v[116:117], s[56:57]
	v_fma_f64 v[40:41], v[110:111], s[20:21], -v[38:39]
	v_add_f64 v[78:79], v[52:53], v[90:91]
	v_mul_f64 v[52:53], v[116:117], s[44:45]
	v_fmac_f64_e32 v[50:51], s[42:43], v[110:111]
	v_add_f64 v[14:15], v[14:15], v[36:37]
	v_fma_f64 v[36:37], s[24:25], v[114:115], v[32:33]
	v_add_f64 v[42:43], v[40:41], v[74:75]
	v_add_f64 v[74:75], v[50:51], v[104:105]
	v_fma_f64 v[50:51], v[114:115], s[42:43], -v[52:53]
	v_add_f64 v[36:37], v[36:37], v[72:73]
	v_add_f64 v[72:73], v[50:51], v[92:93]
	v_mul_f64 v[50:51], v[118:119], s[50:51]
	v_add_f64 v[20:21], v[20:21], v[54:55]
	v_fma_f64 v[54:55], s[42:43], v[114:115], v[52:53]
	v_fma_f64 v[52:53], v[110:111], s[16:17], -v[50:51]
	v_mul_f64 v[40:41], v[116:117], s[28:29]
	v_add_f64 v[64:65], v[52:53], v[48:49]
	v_mul_f64 v[48:49], v[116:117], s[50:51]
	v_fmac_f64_e32 v[50:51], s[16:17], v[110:111]
	v_add_f64 v[26:27], v[24:25], v[56:57]
	v_mul_f64 v[24:25], v[116:117], s[34:35]
	v_fma_f64 v[44:45], s[20:21], v[114:115], v[40:41]
	v_fma_f64 v[40:41], v[114:115], s[20:21], -v[40:41]
	v_add_f64 v[56:57], v[50:51], v[46:47]
	v_fma_f64 v[46:47], v[114:115], s[16:17], -v[48:49]
	v_fma_f64 v[28:29], s[0:1], v[114:115], v[24:25]
	v_fma_f64 v[24:25], v[114:115], s[0:1], -v[24:25]
	v_fmac_f64_e32 v[38:39], s[20:21], v[110:111]
	v_add_f64 v[40:41], v[40:41], v[76:77]
	v_add_f64 v[76:77], v[54:55], v[96:97]
	;; [unrolled: 1-line block ×3, first 2 shown]
	v_mul_f64 v[46:47], v[118:119], s[22:23]
	v_add_f64 v[24:25], v[24:25], v[58:59]
	v_fmac_f64_e32 v[30:31], s[24:25], v[110:111]
	v_fma_f64 v[32:33], v[114:115], s[24:25], -v[32:33]
	v_add_f64 v[38:39], v[38:39], v[68:69]
	v_fma_f64 v[52:53], s[16:17], v[114:115], v[48:49]
	v_fma_f64 v[48:49], v[110:111], s[18:19], -v[46:47]
	v_mul_f64 v[58:59], v[116:117], s[22:23]
	v_add_f64 v[68:69], v[8:9], -v[12:13]
	v_add_f64 v[28:29], v[28:29], v[62:63]
	v_add_f64 v[30:31], v[30:31], v[60:61]
	;; [unrolled: 1-line block ×5, first 2 shown]
	v_fma_f64 v[48:49], s[18:19], v[114:115], v[58:59]
	v_fmac_f64_e32 v[46:47], s[18:19], v[110:111]
	v_add_f64 v[60:61], v[6:7], v[10:11]
	v_add_f64 v[66:67], v[6:7], -v[10:11]
	v_mul_f64 v[6:7], v[68:69], s[44:45]
	v_add_f64 v[50:51], v[48:49], v[102:103]
	v_add_f64 v[48:49], v[46:47], v[106:107]
	v_fma_f64 v[46:47], v[114:115], s[18:19], -v[58:59]
	v_add_f64 v[58:59], v[8:9], v[12:13]
	v_fma_f64 v[8:9], v[60:61], s[42:43], -v[6:7]
	v_add_f64 v[10:11], v[8:9], v[86:87]
	v_mul_f64 v[8:9], v[66:67], s[44:45]
	v_fma_f64 v[12:13], s[42:43], v[58:59], v[8:9]
	v_fma_f64 v[8:9], v[58:59], s[42:43], -v[8:9]
	v_fmac_f64_e32 v[6:7], s[42:43], v[60:61]
	v_add_f64 v[8:9], v[8:9], v[80:81]
	v_mul_f64 v[80:81], v[68:69], s[48:49]
	v_add_f64 v[6:7], v[6:7], v[82:83]
	v_fma_f64 v[82:83], v[60:61], s[20:21], -v[80:81]
	v_add_f64 v[18:19], v[82:83], v[18:19]
	v_mul_f64 v[82:83], v[66:67], s[48:49]
	v_fmac_f64_e32 v[80:81], s[20:21], v[60:61]
	v_add_f64 v[14:15], v[80:81], v[14:15]
	v_fma_f64 v[80:81], v[58:59], s[20:21], -v[82:83]
	v_add_f64 v[16:17], v[80:81], v[16:17]
	v_mul_f64 v[80:81], v[68:69], s[30:31]
	v_add_f64 v[12:13], v[12:13], v[84:85]
	v_fma_f64 v[84:85], s[20:21], v[58:59], v[82:83]
	v_fma_f64 v[82:83], v[60:61], s[40:41], -v[80:81]
	v_add_f64 v[26:27], v[82:83], v[26:27]
	v_mul_f64 v[82:83], v[66:67], s[30:31]
	v_fmac_f64_e32 v[80:81], s[40:41], v[60:61]
	v_add_f64 v[22:23], v[80:81], v[22:23]
	v_fma_f64 v[80:81], v[58:59], s[40:41], -v[82:83]
	v_add_f64 v[24:25], v[80:81], v[24:25]
	v_mul_f64 v[80:81], v[68:69], s[50:51]
	v_add_f64 v[20:21], v[84:85], v[20:21]
	v_fma_f64 v[84:85], s[40:41], v[58:59], v[82:83]
	v_fma_f64 v[82:83], v[60:61], s[16:17], -v[80:81]
	v_add_f64 v[34:35], v[82:83], v[34:35]
	v_mul_f64 v[82:83], v[66:67], s[50:51]
	v_fmac_f64_e32 v[80:81], s[16:17], v[60:61]
	v_add_f64 v[30:31], v[80:81], v[30:31]
	v_fma_f64 v[80:81], v[58:59], s[16:17], -v[82:83]
	v_add_f64 v[32:33], v[80:81], v[32:33]
	v_mul_f64 v[80:81], v[68:69], s[26:27]
	v_add_f64 v[28:29], v[84:85], v[28:29]
	v_fma_f64 v[84:85], s[16:17], v[58:59], v[82:83]
	v_fma_f64 v[82:83], v[60:61], s[24:25], -v[80:81]
	v_add_f64 v[42:43], v[82:83], v[42:43]
	v_mul_f64 v[82:83], v[66:67], s[26:27]
	v_fmac_f64_e32 v[80:81], s[24:25], v[60:61]
	v_add_f64 v[44:45], v[44:45], v[88:89]
	v_add_f64 v[36:37], v[84:85], v[36:37]
	v_fma_f64 v[84:85], s[24:25], v[58:59], v[82:83]
	v_add_f64 v[38:39], v[80:81], v[38:39]
	v_fma_f64 v[80:81], v[58:59], s[24:25], -v[82:83]
	v_mul_f64 v[82:83], v[68:69], s[46:47]
	v_add_f64 v[44:45], v[84:85], v[44:45]
	v_add_f64 v[40:41], v[80:81], v[40:41]
	v_fma_f64 v[80:81], v[60:61], s[14:15], -v[82:83]
	v_mul_f64 v[84:85], v[66:67], s[46:47]
	v_add_f64 v[78:79], v[80:81], v[78:79]
	v_fma_f64 v[80:81], s[14:15], v[58:59], v[84:85]
	v_add_f64 v[80:81], v[80:81], v[76:77]
	v_fma_f64 v[76:77], v[58:59], s[14:15], -v[84:85]
	v_fmac_f64_e32 v[82:83], s[14:15], v[60:61]
	v_add_f64 v[76:77], v[76:77], v[72:73]
	v_mul_f64 v[72:73], v[68:69], s[22:23]
	v_add_f64 v[74:75], v[82:83], v[74:75]
	v_fma_f64 v[82:83], v[60:61], s[18:19], -v[72:73]
	v_add_f64 v[82:83], v[82:83], v[64:65]
	v_mul_f64 v[64:65], v[66:67], s[22:23]
	v_fma_f64 v[84:85], s[18:19], v[58:59], v[64:65]
	v_fmac_f64_e32 v[72:73], s[18:19], v[60:61]
	v_add_f64 v[84:85], v[84:85], v[62:63]
	v_add_f64 v[62:63], v[72:73], v[56:57]
	v_fma_f64 v[56:57], v[58:59], s[18:19], -v[64:65]
	v_add_f64 v[64:65], v[56:57], v[54:55]
	v_mul_f64 v[56:57], v[68:69], s[58:59]
	v_fma_f64 v[54:55], v[60:61], s[0:1], -v[56:57]
	v_mul_f64 v[66:67], v[66:67], s[58:59]
	v_add_f64 v[52:53], v[54:55], v[52:53]
	v_fma_f64 v[54:55], s[0:1], v[58:59], v[66:67]
	s_movk_i32 s12, 0x770
	v_add_f64 v[46:47], v[46:47], v[108:109]
	v_add_f64 v[54:55], v[54:55], v[50:51]
	v_fma_f64 v[50:51], v[58:59], s[0:1], -v[66:67]
	v_add_f64 v[50:51], v[50:51], v[46:47]
	v_mul_u32_u24_sdwa v46, v112, s12 dst_sel:DWORD dst_unused:UNUSED_PAD src0_sel:WORD_1 src1_sel:DWORD
	v_fmac_f64_e32 v[56:57], s[0:1], v[60:61]
	v_add3_u32 v46, 0, v46, v113
	v_add_f64 v[48:49], v[56:57], v[48:49]
	s_barrier
	ds_write_b128 v46, v[2:5]
	ds_write_b128 v46, v[10:13] offset:112
	ds_write_b128 v46, v[18:21] offset:224
	;; [unrolled: 1-line block ×16, first 2 shown]
	v_mov_b32_e32 v2, 31
	v_mul_lo_u16_sdwa v2, v112, v2 dst_sel:DWORD dst_unused:UNUSED_PAD src0_sel:WORD_1 src1_sel:DWORD
	v_lshrrev_b16_e32 v2, 9, v2
	v_mul_lo_u16_e32 v2, 17, v2
	v_sub_u16_sdwa v72, v112, v2 dst_sel:DWORD dst_unused:UNUSED_PAD src0_sel:WORD_1 src1_sel:DWORD
	v_mov_b32_e32 v2, 8
	v_lshlrev_b32_sdwa v18, v2, v72 dst_sel:DWORD dst_unused:UNUSED_PAD src0_sel:DWORD src1_sel:BYTE_0
	s_waitcnt lgkmcnt(0)
	s_barrier
	global_load_dwordx4 v[14:17], v18, s[8:9]
	global_load_dwordx4 v[10:13], v18, s[8:9] offset:16
	global_load_dwordx4 v[6:9], v18, s[8:9] offset:32
	;; [unrolled: 1-line block ×15, first 2 shown]
	ds_read_b128 v[18:21], v70
	ds_read_b128 v[30:33], v70 offset:1904
	ds_read_b128 v[38:41], v70 offset:3808
	;; [unrolled: 1-line block ×11, first 2 shown]
	v_add_co_u32_e32 v1, vcc, s62, v1
	s_mul_i32 s10, s10, s63
	s_mul_i32 s12, s64, s7
	v_mul_u32_u24_e32 v0, 0x227, v0
	v_mul_lo_u32 v73, v1, s5
	v_mul_lo_u16_sdwa v0, v0, s33 dst_sel:DWORD dst_unused:UNUSED_PAD src0_sel:WORD_1 src1_sel:DWORD
	v_add_u32_sdwa v0, v72, v0 dst_sel:DWORD dst_unused:UNUSED_PAD src0_sel:BYTE_0 src1_sel:DWORD
	s_waitcnt vmcnt(15) lgkmcnt(10)
	v_mul_f64 v[46:47], v[32:33], v[16:17]
	v_mul_f64 v[132:133], v[30:31], v[16:17]
	v_fma_f64 v[130:131], v[30:31], v[14:15], -v[46:47]
	v_fmac_f64_e32 v[132:133], v[32:33], v[14:15]
	s_waitcnt vmcnt(14) lgkmcnt(9)
	v_mul_f64 v[14:15], v[40:41], v[12:13]
	v_mul_f64 v[58:59], v[38:39], v[12:13]
	v_fma_f64 v[60:61], v[38:39], v[10:11], -v[14:15]
	v_fmac_f64_e32 v[58:59], v[40:41], v[10:11]
	;; [unrolled: 5-line block ×4, first 2 shown]
	s_waitcnt vmcnt(11) lgkmcnt(6)
	v_mul_f64 v[2:3], v[100:101], v[24:25]
	v_fma_f64 v[30:31], v[98:99], v[22:23], -v[2:3]
	v_mul_f64 v[32:33], v[98:99], v[24:25]
	s_waitcnt vmcnt(10) lgkmcnt(5)
	v_mul_f64 v[2:3], v[104:105], v[28:29]
	v_mul_f64 v[24:25], v[102:103], v[28:29]
	ds_read_b128 v[90:93], v70 offset:22848
	ds_read_b128 v[94:97], v70 offset:24752
	v_fmac_f64_e32 v[32:33], v[100:101], v[22:23]
	v_fma_f64 v[22:23], v[102:103], v[26:27], -v[2:3]
	v_fmac_f64_e32 v[24:25], v[104:105], v[26:27]
	ds_read_b128 v[98:101], v70 offset:26656
	ds_read_b128 v[102:105], v70 offset:28560
	;; [unrolled: 1-line block ×3, first 2 shown]
	s_waitcnt vmcnt(6) lgkmcnt(6)
	v_mul_f64 v[14:15], v[120:121], v[56:57]
	v_mul_f64 v[16:17], v[118:119], v[56:57]
	;; [unrolled: 1-line block ×4, first 2 shown]
	v_fma_f64 v[14:15], v[118:119], v[54:55], -v[14:15]
	v_fmac_f64_e32 v[16:17], v[120:121], v[54:55]
	s_waitcnt vmcnt(5) lgkmcnt(5)
	v_mul_f64 v[26:27], v[124:125], v[64:65]
	v_mul_f64 v[28:29], v[122:123], v[64:65]
	s_waitcnt vmcnt(1) lgkmcnt(1)
	v_mul_f64 v[54:55], v[104:105], v[84:85]
	v_fma_f64 v[10:11], v[106:107], v[34:35], -v[2:3]
	v_fmac_f64_e32 v[12:13], v[108:109], v[34:35]
	v_fma_f64 v[26:27], v[122:123], v[62:63], -v[26:27]
	v_fmac_f64_e32 v[28:29], v[124:125], v[62:63]
	v_mul_f64 v[34:35], v[92:93], v[68:69]
	v_mul_f64 v[36:37], v[90:91], v[68:69]
	v_fma_f64 v[62:63], v[102:103], v[82:83], -v[54:55]
	s_waitcnt vmcnt(0) lgkmcnt(0)
	v_mul_f64 v[54:55], v[128:129], v[88:89]
	v_fma_f64 v[34:35], v[90:91], v[66:67], -v[34:35]
	v_fmac_f64_e32 v[36:37], v[92:93], v[66:67]
	v_fma_f64 v[66:67], v[126:127], v[86:87], -v[54:55]
	v_add_f64 v[54:55], v[18:19], v[130:131]
	v_add_f64 v[56:57], v[20:21], v[132:133]
	;; [unrolled: 1-line block ×10, first 2 shown]
	v_mul_f64 v[2:3], v[112:113], v[44:45]
	v_mul_f64 v[4:5], v[110:111], v[44:45]
	v_add_f64 v[54:55], v[54:55], v[22:23]
	v_add_f64 v[56:57], v[56:57], v[24:25]
	v_fma_f64 v[2:3], v[110:111], v[42:43], -v[2:3]
	v_fmac_f64_e32 v[4:5], v[112:113], v[42:43]
	v_mul_f64 v[6:7], v[116:117], v[52:53]
	v_mul_f64 v[8:9], v[114:115], v[52:53]
	v_add_f64 v[54:55], v[54:55], v[10:11]
	v_add_f64 v[56:57], v[56:57], v[12:13]
	v_fma_f64 v[6:7], v[114:115], v[50:51], -v[6:7]
	v_fmac_f64_e32 v[8:9], v[116:117], v[50:51]
	v_add_f64 v[54:55], v[54:55], v[2:3]
	v_add_f64 v[56:57], v[56:57], v[4:5]
	;; [unrolled: 1-line block ×6, first 2 shown]
	v_mul_f64 v[42:43], v[96:97], v[76:77]
	v_mul_f64 v[44:45], v[94:95], v[76:77]
	v_mul_f64 v[50:51], v[100:101], v[80:81]
	v_add_f64 v[54:55], v[54:55], v[26:27]
	v_add_f64 v[56:57], v[56:57], v[28:29]
	v_fma_f64 v[42:43], v[94:95], v[74:75], -v[42:43]
	v_fmac_f64_e32 v[44:45], v[96:97], v[74:75]
	v_fma_f64 v[52:53], v[98:99], v[78:79], -v[50:51]
	v_mul_f64 v[50:51], v[98:99], v[80:81]
	v_add_f64 v[54:55], v[54:55], v[34:35]
	v_add_f64 v[56:57], v[56:57], v[36:37]
	v_fmac_f64_e32 v[50:51], v[100:101], v[78:79]
	v_mul_f64 v[64:65], v[102:103], v[84:85]
	v_add_f64 v[54:55], v[54:55], v[42:43]
	v_add_f64 v[56:57], v[56:57], v[44:45]
	v_fmac_f64_e32 v[64:65], v[104:105], v[82:83]
	;; [unrolled: 4-line block ×3, first 2 shown]
	v_add_f64 v[54:55], v[54:55], v[62:63]
	v_add_f64 v[56:57], v[56:57], v[64:65]
	;; [unrolled: 1-line block ×6, first 2 shown]
	v_add_f64 v[66:67], v[130:131], -v[66:67]
	v_add_f64 v[68:69], v[132:133], -v[68:69]
	v_mul_f64 v[78:79], v[68:69], s[28:29]
	v_mul_f64 v[82:83], v[66:67], s[28:29]
	;; [unrolled: 1-line block ×16, first 2 shown]
	v_fma_f64 v[80:81], v[74:75], s[20:21], -v[78:79]
	v_fma_f64 v[84:85], s[20:21], v[76:77], v[82:83]
	v_fmac_f64_e32 v[78:79], s[20:21], v[74:75]
	v_fma_f64 v[82:83], v[76:77], s[20:21], -v[82:83]
	v_fma_f64 v[88:89], v[74:75], s[16:17], -v[86:87]
	v_fma_f64 v[92:93], s[16:17], v[76:77], v[90:91]
	v_fmac_f64_e32 v[86:87], s[16:17], v[74:75]
	v_fma_f64 v[90:91], v[76:77], s[16:17], -v[90:91]
	v_fma_f64 v[96:97], v[74:75], s[14:15], -v[94:95]
	v_fmac_f64_e32 v[94:95], s[14:15], v[74:75]
	v_fma_f64 v[102:103], v[74:75], s[0:1], -v[100:101]
	v_fmac_f64_e32 v[100:101], s[0:1], v[74:75]
	v_fma_f64 v[106:107], v[74:75], s[18:19], -v[104:105]
	v_fmac_f64_e32 v[104:105], s[18:19], v[74:75]
	v_fma_f64 v[110:111], v[74:75], s[24:25], -v[108:109]
	v_fmac_f64_e32 v[108:109], s[24:25], v[74:75]
	v_fma_f64 v[114:115], v[74:75], s[40:41], -v[112:113]
	v_fmac_f64_e32 v[112:113], s[40:41], v[74:75]
	v_fma_f64 v[116:117], v[74:75], s[42:43], -v[68:69]
	v_fmac_f64_e32 v[68:69], s[42:43], v[74:75]
	v_fma_f64 v[74:75], s[14:15], v[76:77], v[98:99]
	v_fma_f64 v[98:99], v[76:77], s[14:15], -v[98:99]
	v_fma_f64 v[120:121], s[0:1], v[76:77], v[118:119]
	v_fma_f64 v[118:119], v[76:77], s[0:1], -v[118:119]
	;; [unrolled: 2-line block ×6, first 2 shown]
	v_add_f64 v[76:77], v[18:19], v[80:81]
	v_add_f64 v[80:81], v[20:21], v[84:85]
	;; [unrolled: 1-line block ×21, first 2 shown]
	v_add_f64 v[60:61], v[60:61], -v[62:63]
	v_add_f64 v[62:63], v[58:59], v[64:65]
	v_add_f64 v[58:59], v[58:59], -v[64:65]
	v_mul_f64 v[64:65], v[58:59], s[36:37]
	v_add_f64 v[78:79], v[18:19], v[78:79]
	v_add_f64 v[86:87], v[18:19], v[86:87]
	;; [unrolled: 1-line block ×12, first 2 shown]
	v_fma_f64 v[68:69], v[66:67], s[16:17], -v[64:65]
	v_add_f64 v[68:69], v[68:69], v[76:77]
	v_mul_f64 v[76:77], v[60:61], s[36:37]
	v_fmac_f64_e32 v[64:65], s[16:17], v[66:67]
	v_fma_f64 v[134:135], s[16:17], v[62:63], v[76:77]
	v_add_f64 v[64:65], v[64:65], v[78:79]
	v_fma_f64 v[76:77], v[62:63], s[16:17], -v[76:77]
	v_mul_f64 v[78:79], v[58:59], s[34:35]
	v_add_f64 v[76:77], v[76:77], v[82:83]
	v_fma_f64 v[82:83], v[66:67], s[0:1], -v[78:79]
	v_add_f64 v[82:83], v[82:83], v[84:85]
	v_mul_f64 v[84:85], v[60:61], s[34:35]
	v_fmac_f64_e32 v[78:79], s[0:1], v[66:67]
	v_add_f64 v[80:81], v[134:135], v[80:81]
	v_fma_f64 v[134:135], s[0:1], v[62:63], v[84:85]
	v_add_f64 v[78:79], v[78:79], v[86:87]
	v_fma_f64 v[84:85], v[62:63], s[0:1], -v[84:85]
	v_mul_f64 v[86:87], v[58:59], s[26:27]
	v_add_f64 v[84:85], v[84:85], v[90:91]
	v_fma_f64 v[90:91], v[66:67], s[24:25], -v[86:87]
	v_add_f64 v[90:91], v[90:91], v[92:93]
	v_mul_f64 v[92:93], v[60:61], s[26:27]
	v_fmac_f64_e32 v[86:87], s[24:25], v[66:67]
	v_add_f64 v[88:89], v[134:135], v[88:89]
	;; [unrolled: 10-line block ×5, first 2 shown]
	v_fma_f64 v[134:135], s[18:19], v[62:63], v[122:123]
	v_add_f64 v[108:109], v[118:119], v[108:109]
	v_fma_f64 v[118:119], v[62:63], s[18:19], -v[122:123]
	v_mul_f64 v[122:123], v[58:59], s[46:47]
	v_add_f64 v[118:119], v[118:119], v[126:127]
	v_fma_f64 v[126:127], v[66:67], s[14:15], -v[122:123]
	v_add_f64 v[114:115], v[126:127], v[114:115]
	v_mul_f64 v[126:127], v[60:61], s[46:47]
	v_fmac_f64_e32 v[122:123], s[14:15], v[66:67]
	v_mul_f64 v[58:59], v[58:59], s[48:49]
	v_add_f64 v[124:125], v[134:135], v[124:125]
	v_fma_f64 v[134:135], s[14:15], v[62:63], v[126:127]
	v_add_f64 v[112:113], v[122:123], v[112:113]
	v_fma_f64 v[122:123], v[62:63], s[14:15], -v[126:127]
	v_fma_f64 v[126:127], v[66:67], s[20:21], -v[58:59]
	v_mul_f64 v[60:61], v[60:61], s[48:49]
	v_fmac_f64_e32 v[58:59], s[20:21], v[66:67]
	v_add_f64 v[18:19], v[58:59], v[18:19]
	v_fma_f64 v[58:59], v[62:63], s[20:21], -v[60:61]
	v_add_f64 v[20:21], v[58:59], v[20:21]
	v_add_f64 v[58:59], v[48:49], v[52:53]
	v_add_f64 v[48:49], v[48:49], -v[52:53]
	v_add_f64 v[52:53], v[46:47], v[50:51]
	v_add_f64 v[46:47], v[46:47], -v[50:51]
	v_mul_f64 v[50:51], v[46:47], s[38:39]
	v_add_f64 v[116:117], v[126:127], v[116:117]
	v_fma_f64 v[126:127], s[20:21], v[62:63], v[60:61]
	v_fma_f64 v[60:61], v[58:59], s[14:15], -v[50:51]
	v_mul_f64 v[62:63], v[48:49], s[38:39]
	v_fmac_f64_e32 v[50:51], s[14:15], v[58:59]
	v_fma_f64 v[66:67], s[14:15], v[52:53], v[62:63]
	v_add_f64 v[50:51], v[50:51], v[64:65]
	v_fma_f64 v[62:63], v[52:53], s[14:15], -v[62:63]
	v_mul_f64 v[64:65], v[46:47], s[26:27]
	v_add_f64 v[60:61], v[60:61], v[68:69]
	v_add_f64 v[62:63], v[62:63], v[76:77]
	v_fma_f64 v[68:69], v[58:59], s[24:25], -v[64:65]
	v_mul_f64 v[76:77], v[48:49], s[26:27]
	v_fmac_f64_e32 v[64:65], s[24:25], v[58:59]
	v_add_f64 v[66:67], v[66:67], v[80:81]
	v_fma_f64 v[80:81], s[24:25], v[52:53], v[76:77]
	v_add_f64 v[64:65], v[64:65], v[78:79]
	v_fma_f64 v[76:77], v[52:53], s[24:25], -v[76:77]
	v_mul_f64 v[78:79], v[46:47], s[60:61]
	v_add_f64 v[68:69], v[68:69], v[82:83]
	v_add_f64 v[76:77], v[76:77], v[84:85]
	v_fma_f64 v[82:83], v[58:59], s[42:43], -v[78:79]
	v_mul_f64 v[84:85], v[48:49], s[60:61]
	v_fmac_f64_e32 v[78:79], s[42:43], v[58:59]
	v_add_f64 v[80:81], v[80:81], v[88:89]
	v_fma_f64 v[88:89], s[42:43], v[52:53], v[84:85]
	v_add_f64 v[78:79], v[78:79], v[86:87]
	v_mul_f64 v[86:87], v[46:47], s[52:53]
	v_add_f64 v[82:83], v[82:83], v[90:91]
	v_add_f64 v[74:75], v[88:89], v[74:75]
	v_fma_f64 v[84:85], v[52:53], s[42:43], -v[84:85]
	v_fma_f64 v[88:89], v[58:59], s[18:19], -v[86:87]
	v_mul_f64 v[90:91], v[48:49], s[52:53]
	v_fmac_f64_e32 v[86:87], s[18:19], v[58:59]
	v_add_f64 v[84:85], v[84:85], v[92:93]
	v_fma_f64 v[92:93], s[18:19], v[52:53], v[90:91]
	v_add_f64 v[86:87], v[86:87], v[94:95]
	v_fma_f64 v[90:91], v[52:53], s[18:19], -v[90:91]
	v_mul_f64 v[94:95], v[46:47], s[50:51]
	v_add_f64 v[88:89], v[88:89], v[96:97]
	v_add_f64 v[90:91], v[90:91], v[98:99]
	v_fma_f64 v[96:97], v[58:59], s[16:17], -v[94:95]
	v_mul_f64 v[98:99], v[48:49], s[50:51]
	v_fmac_f64_e32 v[94:95], s[16:17], v[58:59]
	v_add_f64 v[92:93], v[92:93], v[102:103]
	v_fma_f64 v[102:103], s[16:17], v[52:53], v[98:99]
	v_add_f64 v[94:95], v[94:95], v[100:101]
	v_fma_f64 v[98:99], v[52:53], s[16:17], -v[98:99]
	v_mul_f64 v[100:101], v[46:47], s[28:29]
	v_add_f64 v[96:97], v[96:97], v[106:107]
	v_add_f64 v[98:99], v[98:99], v[104:105]
	v_fma_f64 v[104:105], v[58:59], s[20:21], -v[100:101]
	v_mul_f64 v[106:107], v[48:49], s[28:29]
	v_fmac_f64_e32 v[100:101], s[20:21], v[58:59]
	v_add_f64 v[104:105], v[104:105], v[110:111]
	v_fma_f64 v[110:111], s[20:21], v[52:53], v[106:107]
	v_add_f64 v[100:101], v[100:101], v[108:109]
	v_fma_f64 v[106:107], v[52:53], s[20:21], -v[106:107]
	v_mul_f64 v[108:109], v[46:47], s[34:35]
	v_add_f64 v[106:107], v[106:107], v[118:119]
	v_fma_f64 v[118:119], v[58:59], s[0:1], -v[108:109]
	v_add_f64 v[114:115], v[118:119], v[114:115]
	v_mul_f64 v[118:119], v[48:49], s[34:35]
	v_fmac_f64_e32 v[108:109], s[0:1], v[58:59]
	v_mul_f64 v[46:47], v[46:47], s[30:31]
	v_add_f64 v[102:103], v[102:103], v[120:121]
	v_fma_f64 v[120:121], s[0:1], v[52:53], v[118:119]
	v_add_f64 v[108:109], v[108:109], v[112:113]
	v_fma_f64 v[112:113], v[52:53], s[0:1], -v[118:119]
	v_fma_f64 v[118:119], v[58:59], s[40:41], -v[46:47]
	v_mul_f64 v[48:49], v[48:49], s[30:31]
	v_fmac_f64_e32 v[46:47], s[40:41], v[58:59]
	v_add_f64 v[116:117], v[118:119], v[116:117]
	v_fma_f64 v[118:119], s[40:41], v[52:53], v[48:49]
	v_add_f64 v[18:19], v[46:47], v[18:19]
	v_fma_f64 v[46:47], v[52:53], s[40:41], -v[48:49]
	v_add_f64 v[48:49], v[40:41], v[44:45]
	v_add_f64 v[40:41], v[40:41], -v[44:45]
	v_add_f64 v[20:21], v[46:47], v[20:21]
	v_add_f64 v[46:47], v[38:39], v[42:43]
	v_add_f64 v[38:39], v[38:39], -v[42:43]
	v_mul_f64 v[42:43], v[40:41], s[34:35]
	v_fma_f64 v[44:45], v[46:47], s[0:1], -v[42:43]
	v_mul_f64 v[52:53], v[38:39], s[34:35]
	v_fmac_f64_e32 v[42:43], s[0:1], v[46:47]
	v_fma_f64 v[58:59], s[0:1], v[48:49], v[52:53]
	v_add_f64 v[42:43], v[42:43], v[50:51]
	v_fma_f64 v[50:51], v[48:49], s[0:1], -v[52:53]
	v_mul_f64 v[52:53], v[40:41], s[44:45]
	v_add_f64 v[44:45], v[44:45], v[60:61]
	v_add_f64 v[50:51], v[50:51], v[62:63]
	v_fma_f64 v[60:61], v[46:47], s[42:43], -v[52:53]
	v_mul_f64 v[62:63], v[38:39], s[44:45]
	v_fmac_f64_e32 v[52:53], s[42:43], v[46:47]
	v_add_f64 v[58:59], v[58:59], v[66:67]
	v_fma_f64 v[66:67], s[42:43], v[48:49], v[62:63]
	v_add_f64 v[52:53], v[52:53], v[64:65]
	v_fma_f64 v[62:63], v[48:49], s[42:43], -v[62:63]
	v_mul_f64 v[64:65], v[40:41], s[52:53]
	v_add_f64 v[60:61], v[60:61], v[68:69]
	v_add_f64 v[62:63], v[62:63], v[76:77]
	v_fma_f64 v[68:69], v[46:47], s[18:19], -v[64:65]
	v_mul_f64 v[76:77], v[38:39], s[52:53]
	v_fmac_f64_e32 v[64:65], s[18:19], v[46:47]
	v_add_f64 v[66:67], v[66:67], v[80:81]
	v_fma_f64 v[80:81], s[18:19], v[48:49], v[76:77]
	v_add_f64 v[64:65], v[64:65], v[78:79]
	v_mul_f64 v[78:79], v[40:41], s[48:49]
	v_add_f64 v[68:69], v[68:69], v[82:83]
	v_add_f64 v[74:75], v[80:81], v[74:75]
	v_fma_f64 v[76:77], v[48:49], s[18:19], -v[76:77]
	v_fma_f64 v[80:81], v[46:47], s[20:21], -v[78:79]
	v_mul_f64 v[82:83], v[38:39], s[48:49]
	v_fmac_f64_e32 v[78:79], s[20:21], v[46:47]
	v_add_f64 v[76:77], v[76:77], v[84:85]
	v_fma_f64 v[84:85], s[20:21], v[48:49], v[82:83]
	v_add_f64 v[78:79], v[78:79], v[86:87]
	v_fma_f64 v[82:83], v[48:49], s[20:21], -v[82:83]
	v_mul_f64 v[86:87], v[40:41], s[38:39]
	v_add_f64 v[80:81], v[80:81], v[88:89]
	v_add_f64 v[82:83], v[82:83], v[90:91]
	v_fma_f64 v[88:89], v[46:47], s[14:15], -v[86:87]
	v_mul_f64 v[90:91], v[38:39], s[38:39]
	v_fmac_f64_e32 v[86:87], s[14:15], v[46:47]
	v_add_f64 v[84:85], v[84:85], v[92:93]
	v_fma_f64 v[92:93], s[14:15], v[48:49], v[90:91]
	v_add_f64 v[86:87], v[86:87], v[94:95]
	v_fma_f64 v[90:91], v[48:49], s[14:15], -v[90:91]
	v_mul_f64 v[94:95], v[40:41], s[30:31]
	v_add_f64 v[88:89], v[88:89], v[96:97]
	v_add_f64 v[90:91], v[90:91], v[98:99]
	;; [unrolled: 10-line block ×3, first 2 shown]
	v_add_f64 v[96:97], v[96:97], v[104:105]
	v_add_f64 v[98:99], v[98:99], v[106:107]
	v_fma_f64 v[104:105], v[46:47], s[24:25], -v[100:101]
	v_mul_f64 v[106:107], v[38:39], s[56:57]
	v_fmac_f64_e32 v[100:101], s[24:25], v[46:47]
	v_mul_f64 v[40:41], v[40:41], s[50:51]
	v_add_f64 v[112:113], v[112:113], v[122:123]
	v_add_f64 v[102:103], v[102:103], v[110:111]
	v_fma_f64 v[110:111], s[24:25], v[48:49], v[106:107]
	v_add_f64 v[100:101], v[100:101], v[108:109]
	v_fma_f64 v[106:107], v[48:49], s[24:25], -v[106:107]
	v_fma_f64 v[108:109], v[46:47], s[16:17], -v[40:41]
	v_mul_f64 v[38:39], v[38:39], s[50:51]
	v_fmac_f64_e32 v[40:41], s[16:17], v[46:47]
	v_add_f64 v[106:107], v[106:107], v[112:113]
	v_fma_f64 v[112:113], s[16:17], v[48:49], v[38:39]
	v_add_f64 v[18:19], v[40:41], v[18:19]
	v_fma_f64 v[38:39], v[48:49], s[16:17], -v[38:39]
	v_add_f64 v[40:41], v[32:33], v[36:37]
	v_add_f64 v[32:33], v[32:33], -v[36:37]
	v_add_f64 v[20:21], v[38:39], v[20:21]
	v_add_f64 v[38:39], v[30:31], v[34:35]
	v_add_f64 v[30:31], v[30:31], -v[34:35]
	v_mul_f64 v[34:35], v[32:33], s[22:23]
	v_fma_f64 v[36:37], v[38:39], s[18:19], -v[34:35]
	v_add_f64 v[36:37], v[36:37], v[44:45]
	v_mul_f64 v[44:45], v[30:31], s[22:23]
	v_fmac_f64_e32 v[34:35], s[18:19], v[38:39]
	v_fma_f64 v[46:47], s[18:19], v[40:41], v[44:45]
	v_add_f64 v[34:35], v[34:35], v[42:43]
	v_fma_f64 v[42:43], v[40:41], s[18:19], -v[44:45]
	v_mul_f64 v[44:45], v[32:33], s[54:55]
	v_fma_f64 v[48:49], v[38:39], s[40:41], -v[44:45]
	v_fmac_f64_e32 v[44:45], s[40:41], v[38:39]
	v_add_f64 v[42:43], v[42:43], v[50:51]
	v_mul_f64 v[50:51], v[30:31], s[54:55]
	v_add_f64 v[44:45], v[44:45], v[52:53]
	v_mul_f64 v[52:53], v[32:33], s[50:51]
	v_add_f64 v[46:47], v[46:47], v[58:59]
	v_add_f64 v[48:49], v[48:49], v[60:61]
	v_fma_f64 v[58:59], s[40:41], v[40:41], v[50:51]
	v_fma_f64 v[50:51], v[40:41], s[40:41], -v[50:51]
	v_fma_f64 v[60:61], v[38:39], s[16:17], -v[52:53]
	v_fmac_f64_e32 v[52:53], s[16:17], v[38:39]
	v_add_f64 v[50:51], v[50:51], v[62:63]
	v_mul_f64 v[62:63], v[30:31], s[50:51]
	v_add_f64 v[52:53], v[52:53], v[64:65]
	v_mul_f64 v[64:65], v[32:33], s[38:39]
	v_add_f64 v[58:59], v[58:59], v[66:67]
	v_add_f64 v[60:61], v[60:61], v[68:69]
	v_fma_f64 v[66:67], s[16:17], v[40:41], v[62:63]
	v_fma_f64 v[68:69], v[38:39], s[14:15], -v[64:65]
	v_fmac_f64_e32 v[64:65], s[14:15], v[38:39]
	v_add_f64 v[66:67], v[66:67], v[74:75]
	v_fma_f64 v[62:63], v[40:41], s[16:17], -v[62:63]
	v_mul_f64 v[74:75], v[30:31], s[38:39]
	v_add_f64 v[64:65], v[64:65], v[78:79]
	v_mul_f64 v[78:79], v[32:33], s[44:45]
	v_add_f64 v[62:63], v[62:63], v[76:77]
	v_add_f64 v[68:69], v[68:69], v[80:81]
	v_fma_f64 v[76:77], s[14:15], v[40:41], v[74:75]
	v_fma_f64 v[74:75], v[40:41], s[14:15], -v[74:75]
	v_fma_f64 v[80:81], v[38:39], s[42:43], -v[78:79]
	v_fmac_f64_e32 v[78:79], s[42:43], v[38:39]
	v_add_f64 v[74:75], v[74:75], v[82:83]
	v_mul_f64 v[82:83], v[30:31], s[44:45]
	v_add_f64 v[78:79], v[78:79], v[86:87]
	v_mul_f64 v[86:87], v[32:33], s[58:59]
	v_add_f64 v[76:77], v[76:77], v[84:85]
	v_add_f64 v[80:81], v[80:81], v[88:89]
	v_fma_f64 v[84:85], s[42:43], v[40:41], v[82:83]
	v_fma_f64 v[82:83], v[40:41], s[42:43], -v[82:83]
	v_fma_f64 v[88:89], v[38:39], s[0:1], -v[86:87]
	v_fmac_f64_e32 v[86:87], s[0:1], v[38:39]
	v_add_f64 v[82:83], v[82:83], v[90:91]
	v_mul_f64 v[90:91], v[30:31], s[58:59]
	v_add_f64 v[86:87], v[86:87], v[94:95]
	v_mul_f64 v[94:95], v[32:33], s[28:29]
	v_add_f64 v[84:85], v[84:85], v[92:93]
	v_add_f64 v[88:89], v[88:89], v[96:97]
	v_fma_f64 v[92:93], s[0:1], v[40:41], v[90:91]
	v_fma_f64 v[90:91], v[40:41], s[0:1], -v[90:91]
	v_fma_f64 v[96:97], v[38:39], s[20:21], -v[94:95]
	v_fmac_f64_e32 v[94:95], s[20:21], v[38:39]
	v_mul_f64 v[32:33], v[32:33], s[26:27]
	v_add_f64 v[104:105], v[104:105], v[114:115]
	v_add_f64 v[90:91], v[90:91], v[98:99]
	v_mul_f64 v[98:99], v[30:31], s[28:29]
	v_add_f64 v[94:95], v[94:95], v[100:101]
	v_fma_f64 v[100:101], v[38:39], s[24:25], -v[32:33]
	v_mul_f64 v[30:31], v[30:31], s[26:27]
	v_fmac_f64_e32 v[32:33], s[24:25], v[38:39]
	v_add_f64 v[96:97], v[96:97], v[104:105]
	v_fma_f64 v[104:105], s[24:25], v[40:41], v[30:31]
	v_add_f64 v[18:19], v[32:33], v[18:19]
	v_fma_f64 v[30:31], v[40:41], s[24:25], -v[30:31]
	v_add_f64 v[32:33], v[24:25], v[28:29]
	v_add_f64 v[24:25], v[24:25], -v[28:29]
	v_add_f64 v[20:21], v[30:31], v[20:21]
	v_add_f64 v[30:31], v[22:23], v[26:27]
	v_add_f64 v[22:23], v[22:23], -v[26:27]
	v_mul_f64 v[26:27], v[24:25], s[26:27]
	v_fma_f64 v[28:29], v[30:31], s[24:25], -v[26:27]
	v_add_f64 v[28:29], v[28:29], v[36:37]
	v_mul_f64 v[36:37], v[22:23], s[26:27]
	v_fmac_f64_e32 v[26:27], s[24:25], v[30:31]
	v_fma_f64 v[38:39], s[24:25], v[32:33], v[36:37]
	v_add_f64 v[26:27], v[26:27], v[34:35]
	v_fma_f64 v[34:35], v[32:33], s[24:25], -v[36:37]
	v_mul_f64 v[36:37], v[24:25], s[52:53]
	v_add_f64 v[92:93], v[92:93], v[102:103]
	v_fma_f64 v[102:103], s[20:21], v[40:41], v[98:99]
	v_fma_f64 v[98:99], v[40:41], s[20:21], -v[98:99]
	v_fma_f64 v[40:41], v[30:31], s[18:19], -v[36:37]
	v_fmac_f64_e32 v[36:37], s[18:19], v[30:31]
	v_add_f64 v[34:35], v[34:35], v[42:43]
	v_mul_f64 v[42:43], v[22:23], s[52:53]
	v_add_f64 v[36:37], v[36:37], v[44:45]
	v_mul_f64 v[44:45], v[24:25], s[28:29]
	v_add_f64 v[38:39], v[38:39], v[46:47]
	v_add_f64 v[40:41], v[40:41], v[48:49]
	v_fma_f64 v[46:47], s[18:19], v[32:33], v[42:43]
	v_fma_f64 v[42:43], v[32:33], s[18:19], -v[42:43]
	v_fma_f64 v[48:49], v[30:31], s[20:21], -v[44:45]
	v_fmac_f64_e32 v[44:45], s[20:21], v[30:31]
	v_add_f64 v[42:43], v[42:43], v[50:51]
	v_mul_f64 v[50:51], v[22:23], s[28:29]
	v_add_f64 v[44:45], v[44:45], v[52:53]
	v_mul_f64 v[52:53], v[24:25], s[30:31]
	v_add_f64 v[46:47], v[46:47], v[58:59]
	v_add_f64 v[48:49], v[48:49], v[60:61]
	v_fma_f64 v[58:59], s[20:21], v[32:33], v[50:51]
	v_fma_f64 v[50:51], v[32:33], s[20:21], -v[50:51]
	v_fma_f64 v[60:61], v[30:31], s[40:41], -v[52:53]
	v_fmac_f64_e32 v[52:53], s[40:41], v[30:31]
	v_add_f64 v[50:51], v[50:51], v[62:63]
	v_mul_f64 v[62:63], v[22:23], s[30:31]
	v_add_f64 v[52:53], v[52:53], v[64:65]
	v_mul_f64 v[64:65], v[24:25], s[58:59]
	v_add_f64 v[58:59], v[58:59], v[66:67]
	v_add_f64 v[60:61], v[60:61], v[68:69]
	v_fma_f64 v[66:67], s[40:41], v[32:33], v[62:63]
	v_fma_f64 v[62:63], v[32:33], s[40:41], -v[62:63]
	v_fma_f64 v[68:69], v[30:31], s[0:1], -v[64:65]
	v_fmac_f64_e32 v[64:65], s[0:1], v[30:31]
	v_add_f64 v[62:63], v[62:63], v[74:75]
	v_mul_f64 v[74:75], v[22:23], s[58:59]
	v_add_f64 v[64:65], v[64:65], v[78:79]
	v_mul_f64 v[78:79], v[24:25], s[36:37]
	v_add_f64 v[66:67], v[66:67], v[76:77]
	v_add_f64 v[68:69], v[68:69], v[80:81]
	v_fma_f64 v[76:77], s[0:1], v[32:33], v[74:75]
	v_fma_f64 v[74:75], v[32:33], s[0:1], -v[74:75]
	v_fma_f64 v[80:81], v[30:31], s[16:17], -v[78:79]
	v_fmac_f64_e32 v[78:79], s[16:17], v[30:31]
	v_add_f64 v[74:75], v[74:75], v[82:83]
	v_mul_f64 v[82:83], v[22:23], s[36:37]
	v_add_f64 v[78:79], v[78:79], v[86:87]
	v_mul_f64 v[86:87], v[24:25], s[44:45]
	v_add_f64 v[76:77], v[76:77], v[84:85]
	v_add_f64 v[80:81], v[80:81], v[88:89]
	v_fma_f64 v[84:85], s[16:17], v[32:33], v[82:83]
	v_fma_f64 v[82:83], v[32:33], s[16:17], -v[82:83]
	v_fma_f64 v[88:89], v[30:31], s[42:43], -v[86:87]
	v_fmac_f64_e32 v[86:87], s[42:43], v[30:31]
	v_mul_f64 v[24:25], v[24:25], s[46:47]
	v_add_f64 v[82:83], v[82:83], v[90:91]
	v_mul_f64 v[90:91], v[22:23], s[44:45]
	v_add_f64 v[86:87], v[86:87], v[94:95]
	v_fma_f64 v[94:95], v[30:31], s[14:15], -v[24:25]
	v_mul_f64 v[22:23], v[22:23], s[46:47]
	v_fmac_f64_e32 v[24:25], s[14:15], v[30:31]
	v_add_f64 v[88:89], v[88:89], v[96:97]
	v_fma_f64 v[96:97], s[14:15], v[32:33], v[22:23]
	v_add_f64 v[18:19], v[24:25], v[18:19]
	v_fma_f64 v[22:23], v[32:33], s[14:15], -v[22:23]
	v_add_f64 v[24:25], v[12:13], v[16:17]
	v_add_f64 v[12:13], v[12:13], -v[16:17]
	v_add_f64 v[20:21], v[22:23], v[20:21]
	v_add_f64 v[22:23], v[10:11], v[14:15]
	v_add_f64 v[10:11], v[10:11], -v[14:15]
	v_mul_f64 v[14:15], v[12:13], s[30:31]
	v_fma_f64 v[16:17], v[22:23], s[40:41], -v[14:15]
	v_add_f64 v[16:17], v[16:17], v[28:29]
	v_mul_f64 v[28:29], v[10:11], s[30:31]
	v_fmac_f64_e32 v[14:15], s[40:41], v[22:23]
	v_add_f64 v[14:15], v[14:15], v[26:27]
	v_fma_f64 v[26:27], v[24:25], s[40:41], -v[28:29]
	v_fma_f64 v[30:31], s[40:41], v[24:25], v[28:29]
	v_add_f64 v[26:27], v[26:27], v[34:35]
	v_mul_f64 v[34:35], v[10:11], s[46:47]
	v_add_f64 v[30:31], v[30:31], v[38:39]
	v_mul_f64 v[28:29], v[12:13], s[46:47]
	v_fma_f64 v[38:39], s[14:15], v[24:25], v[34:35]
	v_fma_f64 v[34:35], v[24:25], s[14:15], -v[34:35]
	v_add_f64 v[84:85], v[84:85], v[92:93]
	v_fma_f64 v[92:93], s[42:43], v[32:33], v[90:91]
	v_fma_f64 v[90:91], v[32:33], s[42:43], -v[90:91]
	v_fma_f64 v[32:33], v[22:23], s[14:15], -v[28:29]
	v_fmac_f64_e32 v[28:29], s[14:15], v[22:23]
	v_add_f64 v[34:35], v[34:35], v[42:43]
	v_mul_f64 v[42:43], v[10:11], s[34:35]
	v_add_f64 v[38:39], v[38:39], v[46:47]
	v_add_f64 v[28:29], v[28:29], v[36:37]
	v_mul_f64 v[36:37], v[12:13], s[34:35]
	v_fma_f64 v[46:47], s[0:1], v[24:25], v[42:43]
	v_fma_f64 v[42:43], v[24:25], s[0:1], -v[42:43]
	v_add_f64 v[128:129], v[134:135], v[128:129]
	v_add_f64 v[108:109], v[108:109], v[116:117]
	;; [unrolled: 1-line block ×3, first 2 shown]
	v_fma_f64 v[40:41], v[22:23], s[0:1], -v[36:37]
	v_fmac_f64_e32 v[36:37], s[0:1], v[22:23]
	v_add_f64 v[42:43], v[42:43], v[50:51]
	v_mul_f64 v[50:51], v[10:11], s[56:57]
	v_add_f64 v[126:127], v[126:127], v[132:133]
	v_add_f64 v[120:121], v[120:121], v[128:129]
	;; [unrolled: 1-line block ×5, first 2 shown]
	v_mul_f64 v[44:45], v[12:13], s[56:57]
	v_fma_f64 v[58:59], s[24:25], v[24:25], v[50:51]
	v_fma_f64 v[50:51], v[24:25], s[24:25], -v[50:51]
	v_add_f64 v[118:119], v[118:119], v[126:127]
	v_add_f64 v[110:111], v[110:111], v[120:121]
	;; [unrolled: 1-line block ×4, first 2 shown]
	v_fma_f64 v[48:49], v[22:23], s[24:25], -v[44:45]
	v_fmac_f64_e32 v[44:45], s[24:25], v[22:23]
	v_add_f64 v[100:101], v[50:51], v[62:63]
	v_mul_f64 v[50:51], v[12:13], s[28:29]
	v_add_f64 v[112:113], v[112:113], v[118:119]
	v_add_f64 v[102:103], v[102:103], v[110:111]
	;; [unrolled: 1-line block ×3, first 2 shown]
	v_fma_f64 v[52:53], v[22:23], s[20:21], -v[50:51]
	v_add_f64 v[104:105], v[104:105], v[112:113]
	v_add_f64 v[92:93], v[92:93], v[102:103]
	;; [unrolled: 1-line block ×3, first 2 shown]
	v_mul_f64 v[52:53], v[10:11], s[28:29]
	v_fmac_f64_e32 v[50:51], s[20:21], v[22:23]
	v_add_f64 v[96:97], v[96:97], v[104:105]
	v_add_f64 v[104:105], v[50:51], v[64:65]
	v_fma_f64 v[50:51], v[24:25], s[20:21], -v[52:53]
	v_add_f64 v[98:99], v[98:99], v[106:107]
	v_add_f64 v[74:75], v[50:51], v[74:75]
	v_mul_f64 v[50:51], v[12:13], s[44:45]
	v_add_f64 v[90:91], v[90:91], v[98:99]
	v_add_f64 v[98:99], v[58:59], v[66:67]
	v_fma_f64 v[58:59], s[20:21], v[24:25], v[52:53]
	v_fma_f64 v[52:53], v[22:23], s[42:43], -v[50:51]
	v_add_f64 v[80:81], v[52:53], v[80:81]
	v_mul_f64 v[52:53], v[10:11], s[44:45]
	v_fmac_f64_e32 v[50:51], s[42:43], v[22:23]
	v_add_f64 v[116:117], v[4:5], -v[8:9]
	v_add_f64 v[78:79], v[50:51], v[78:79]
	v_fma_f64 v[50:51], v[24:25], s[42:43], -v[52:53]
	v_add_f64 v[110:111], v[2:3], v[6:7]
	v_add_f64 v[114:115], v[2:3], -v[6:7]
	v_mul_f64 v[2:3], v[116:117], s[44:45]
	v_add_f64 v[82:83], v[50:51], v[82:83]
	v_mul_f64 v[50:51], v[12:13], s[50:51]
	v_add_f64 v[112:113], v[4:5], v[8:9]
	v_fma_f64 v[4:5], v[110:111], s[42:43], -v[2:3]
	v_add_f64 v[76:77], v[58:59], v[76:77]
	v_fma_f64 v[58:59], s[42:43], v[24:25], v[52:53]
	v_fma_f64 v[52:53], v[22:23], s[16:17], -v[50:51]
	v_add_f64 v[66:67], v[4:5], v[16:17]
	v_mul_f64 v[4:5], v[114:115], s[44:45]
	v_add_f64 v[88:89], v[52:53], v[88:89]
	v_mul_f64 v[52:53], v[10:11], s[50:51]
	v_fmac_f64_e32 v[50:51], s[16:17], v[22:23]
	v_fma_f64 v[6:7], s[42:43], v[112:113], v[4:5]
	v_add_f64 v[86:87], v[50:51], v[86:87]
	v_fma_f64 v[50:51], v[24:25], s[16:17], -v[52:53]
	v_mul_f64 v[12:13], v[12:13], s[22:23]
	v_add_f64 v[68:69], v[6:7], v[30:31]
	v_mul_f64 v[6:7], v[116:117], s[48:49]
	v_add_f64 v[90:91], v[50:51], v[90:91]
	v_fma_f64 v[50:51], v[22:23], s[18:19], -v[12:13]
	v_mul_f64 v[10:11], v[10:11], s[22:23]
	v_fma_f64 v[8:9], v[110:111], s[20:21], -v[6:7]
	v_add_f64 v[94:95], v[50:51], v[94:95]
	v_fma_f64 v[50:51], s[18:19], v[24:25], v[10:11]
	v_fma_f64 v[10:11], v[24:25], s[18:19], -v[10:11]
	v_add_f64 v[62:63], v[8:9], v[32:33]
	v_mul_f64 v[8:9], v[114:115], s[48:49]
	v_add_f64 v[108:109], v[10:11], v[20:21]
	v_fma_f64 v[10:11], s[20:21], v[112:113], v[8:9]
	v_fmac_f64_e32 v[12:13], s[18:19], v[22:23]
	v_add_f64 v[64:65], v[10:11], v[38:39]
	v_mul_f64 v[10:11], v[116:117], s[30:31]
	v_add_f64 v[84:85], v[58:59], v[84:85]
	v_fma_f64 v[58:59], s[16:17], v[24:25], v[52:53]
	v_add_f64 v[106:107], v[12:13], v[18:19]
	v_fma_f64 v[12:13], v[110:111], s[40:41], -v[10:11]
	v_add_f64 v[92:93], v[58:59], v[92:93]
	v_fmac_f64_e32 v[2:3], s[42:43], v[110:111]
	v_add_f64 v[58:59], v[12:13], v[40:41]
	v_mul_f64 v[12:13], v[114:115], s[30:31]
	v_add_f64 v[2:3], v[2:3], v[14:15]
	v_fma_f64 v[14:15], s[40:41], v[112:113], v[12:13]
	v_add_f64 v[48:49], v[48:49], v[60:61]
	v_add_f64 v[60:61], v[14:15], v[46:47]
	v_mul_f64 v[14:15], v[116:117], s[50:51]
	v_fma_f64 v[16:17], v[110:111], s[16:17], -v[14:15]
	v_add_f64 v[96:97], v[50:51], v[96:97]
	v_add_f64 v[50:51], v[16:17], v[48:49]
	v_mul_f64 v[16:17], v[114:115], s[50:51]
	v_fma_f64 v[18:19], s[16:17], v[112:113], v[16:17]
	v_add_f64 v[52:53], v[18:19], v[98:99]
	v_mul_f64 v[18:19], v[116:117], s[26:27]
	v_fma_f64 v[20:21], v[110:111], s[24:25], -v[18:19]
	v_add_f64 v[46:47], v[20:21], v[102:103]
	v_mul_f64 v[20:21], v[114:115], s[26:27]
	v_fma_f64 v[22:23], s[24:25], v[112:113], v[20:21]
	v_add_f64 v[48:49], v[22:23], v[76:77]
	v_mul_f64 v[22:23], v[116:117], s[46:47]
	v_fma_f64 v[12:13], v[112:113], s[40:41], -v[12:13]
	v_fma_f64 v[24:25], v[110:111], s[14:15], -v[22:23]
	v_fma_f64 v[4:5], v[112:113], s[42:43], -v[4:5]
	v_add_f64 v[12:13], v[12:13], v[42:43]
	v_add_f64 v[42:43], v[24:25], v[80:81]
	v_mul_f64 v[24:25], v[114:115], s[46:47]
	v_add_f64 v[4:5], v[4:5], v[26:27]
	v_fmac_f64_e32 v[14:15], s[16:17], v[110:111]
	v_fma_f64 v[26:27], s[14:15], v[112:113], v[24:25]
	v_fmac_f64_e32 v[6:7], s[20:21], v[110:111]
	v_add_f64 v[14:15], v[14:15], v[44:45]
	v_add_f64 v[44:45], v[26:27], v[84:85]
	v_mul_f64 v[26:27], v[116:117], s[22:23]
	v_add_f64 v[6:7], v[6:7], v[28:29]
	v_fma_f64 v[28:29], v[110:111], s[18:19], -v[26:27]
	v_add_f64 v[38:39], v[28:29], v[88:89]
	v_mul_f64 v[28:29], v[114:115], s[22:23]
	v_fma_f64 v[30:31], s[18:19], v[112:113], v[28:29]
	v_add_f64 v[40:41], v[30:31], v[92:93]
	v_mul_f64 v[30:31], v[116:117], s[58:59]
	v_fma_f64 v[8:9], v[112:113], s[20:21], -v[8:9]
	v_fma_f64 v[32:33], v[110:111], s[0:1], -v[30:31]
	v_add_f64 v[8:9], v[8:9], v[34:35]
	v_fmac_f64_e32 v[10:11], s[40:41], v[110:111]
	v_fma_f64 v[20:21], v[112:113], s[24:25], -v[20:21]
	v_add_f64 v[34:35], v[32:33], v[94:95]
	v_mul_f64 v[32:33], v[114:115], s[58:59]
	v_add_f64 v[10:11], v[10:11], v[36:37]
	v_add_f64 v[20:21], v[20:21], v[74:75]
	v_fma_f64 v[36:37], s[0:1], v[112:113], v[32:33]
	v_fmac_f64_e32 v[30:31], s[0:1], v[110:111]
	v_fma_f64 v[32:33], v[112:113], s[0:1], -v[32:33]
	v_addc_co_u32_e64 v70, s[0:1], 0, 0, vcc
	v_mad_u64_u32 v[74:75], s[0:1], v1, s4, 0
	s_lshl_b64 s[0:1], s[10:11], 4
	s_add_u32 s2, s2, s0
	v_mul_lo_u32 v70, v70, s4
	s_addc_u32 s3, s3, s1
	s_lshl_b64 s[0:1], s[12:13], 4
	v_add3_u32 v75, v75, v73, v70
	s_add_u32 s0, s2, s0
	v_mul_lo_u32 v70, v0, s6
	s_addc_u32 s1, s3, s1
	v_lshlrev_b64 v[0:1], 4, v[74:75]
	v_mov_b32_e32 v72, s1
	v_add_co_u32_e32 v0, vcc, s0, v0
	v_addc_co_u32_e32 v1, vcc, v72, v1, vcc
	v_lshlrev_b64 v[72:73], 4, v[70:71]
	v_add_co_u32_e32 v72, vcc, v0, v72
	s_mul_i32 s0, s6, 17
	v_addc_co_u32_e32 v73, vcc, v1, v73, vcc
	v_add_u32_e32 v70, s0, v70
	global_store_dwordx4 v[72:73], v[54:57], off
	v_add_f64 v[36:37], v[36:37], v[96:97]
	v_lshlrev_b64 v[54:55], 4, v[70:71]
	v_add_co_u32_e32 v54, vcc, v0, v54
	v_addc_co_u32_e32 v55, vcc, v1, v55, vcc
	v_add_u32_e32 v70, s0, v70
	global_store_dwordx4 v[54:55], v[66:69], off
	v_lshlrev_b64 v[54:55], 4, v[70:71]
	v_add_co_u32_e32 v54, vcc, v0, v54
	v_addc_co_u32_e32 v55, vcc, v1, v55, vcc
	v_add_u32_e32 v70, s0, v70
	global_store_dwordx4 v[54:55], v[62:65], off
	;; [unrolled: 5-line block ×4, first 2 shown]
	v_add_f64 v[30:31], v[30:31], v[106:107]
	v_lshlrev_b64 v[50:51], 4, v[70:71]
	v_add_co_u32_e32 v50, vcc, v0, v50
	v_addc_co_u32_e32 v51, vcc, v1, v51, vcc
	v_add_u32_e32 v70, s0, v70
	global_store_dwordx4 v[50:51], v[46:49], off
	v_add_f64 v[32:33], v[32:33], v[108:109]
	v_lshlrev_b64 v[46:47], 4, v[70:71]
	v_add_co_u32_e32 v46, vcc, v0, v46
	v_addc_co_u32_e32 v47, vcc, v1, v47, vcc
	v_add_u32_e32 v70, s0, v70
	global_store_dwordx4 v[46:47], v[42:45], off
	v_fmac_f64_e32 v[26:27], s[18:19], v[110:111]
	v_lshlrev_b64 v[42:43], 4, v[70:71]
	v_add_co_u32_e32 v42, vcc, v0, v42
	v_addc_co_u32_e32 v43, vcc, v1, v43, vcc
	v_add_u32_e32 v70, s0, v70
	global_store_dwordx4 v[42:43], v[38:41], off
	v_fma_f64 v[28:29], v[112:113], s[18:19], -v[28:29]
	v_lshlrev_b64 v[38:39], 4, v[70:71]
	v_add_co_u32_e32 v38, vcc, v0, v38
	v_addc_co_u32_e32 v39, vcc, v1, v39, vcc
	v_add_u32_e32 v70, s0, v70
	global_store_dwordx4 v[38:39], v[34:37], off
	v_add_f64 v[26:27], v[26:27], v[86:87]
	v_lshlrev_b64 v[34:35], 4, v[70:71]
	v_add_co_u32_e32 v34, vcc, v0, v34
	v_addc_co_u32_e32 v35, vcc, v1, v35, vcc
	v_add_u32_e32 v70, s0, v70
	global_store_dwordx4 v[34:35], v[30:33], off
	v_add_f64 v[28:29], v[28:29], v[90:91]
	v_lshlrev_b64 v[30:31], 4, v[70:71]
	v_add_co_u32_e32 v30, vcc, v0, v30
	v_addc_co_u32_e32 v31, vcc, v1, v31, vcc
	v_add_u32_e32 v70, s0, v70
	global_store_dwordx4 v[30:31], v[26:29], off
	v_fmac_f64_e32 v[22:23], s[14:15], v[110:111]
	v_lshlrev_b64 v[26:27], 4, v[70:71]
	v_fma_f64 v[24:25], v[112:113], s[14:15], -v[24:25]
	v_add_co_u32_e32 v26, vcc, v0, v26
	v_add_f64 v[22:23], v[22:23], v[78:79]
	v_add_f64 v[24:25], v[24:25], v[82:83]
	v_addc_co_u32_e32 v27, vcc, v1, v27, vcc
	v_add_u32_e32 v70, s0, v70
	global_store_dwordx4 v[26:27], v[22:25], off
	v_fmac_f64_e32 v[18:19], s[24:25], v[110:111]
	v_lshlrev_b64 v[22:23], 4, v[70:71]
	v_add_co_u32_e32 v22, vcc, v0, v22
	v_add_f64 v[18:19], v[18:19], v[104:105]
	v_addc_co_u32_e32 v23, vcc, v1, v23, vcc
	v_add_u32_e32 v70, s0, v70
	global_store_dwordx4 v[22:23], v[18:21], off
	v_fma_f64 v[16:17], v[112:113], s[16:17], -v[16:17]
	v_lshlrev_b64 v[18:19], 4, v[70:71]
	v_add_co_u32_e32 v18, vcc, v0, v18
	v_add_f64 v[16:17], v[16:17], v[100:101]
	v_addc_co_u32_e32 v19, vcc, v1, v19, vcc
	v_add_u32_e32 v70, s0, v70
	global_store_dwordx4 v[18:19], v[14:17], off
	s_nop 0
	v_lshlrev_b64 v[14:15], 4, v[70:71]
	v_add_co_u32_e32 v14, vcc, v0, v14
	v_addc_co_u32_e32 v15, vcc, v1, v15, vcc
	v_add_u32_e32 v70, s0, v70
	global_store_dwordx4 v[14:15], v[10:13], off
	s_nop 0
	v_lshlrev_b64 v[10:11], 4, v[70:71]
	v_add_co_u32_e32 v10, vcc, v0, v10
	;; [unrolled: 6-line block ×3, first 2 shown]
	v_addc_co_u32_e32 v1, vcc, v1, v7, vcc
	global_store_dwordx4 v[0:1], v[2:5], off
	s_endpgm
	.section	.rodata,"a",@progbits
	.p2align	6, 0x0
	.amdhsa_kernel fft_rtc_fwd_len289_factors_17_17_wgs_119_tpt_17_dp_op_CI_CI_sbrc_xy_z_diag_dirReg
		.amdhsa_group_segment_fixed_size 0
		.amdhsa_private_segment_fixed_size 0
		.amdhsa_kernarg_size 104
		.amdhsa_user_sgpr_count 6
		.amdhsa_user_sgpr_private_segment_buffer 1
		.amdhsa_user_sgpr_dispatch_ptr 0
		.amdhsa_user_sgpr_queue_ptr 0
		.amdhsa_user_sgpr_kernarg_segment_ptr 1
		.amdhsa_user_sgpr_dispatch_id 0
		.amdhsa_user_sgpr_flat_scratch_init 0
		.amdhsa_user_sgpr_kernarg_preload_length 0
		.amdhsa_user_sgpr_kernarg_preload_offset 0
		.amdhsa_user_sgpr_private_segment_size 0
		.amdhsa_uses_dynamic_stack 0
		.amdhsa_system_sgpr_private_segment_wavefront_offset 0
		.amdhsa_system_sgpr_workgroup_id_x 1
		.amdhsa_system_sgpr_workgroup_id_y 0
		.amdhsa_system_sgpr_workgroup_id_z 0
		.amdhsa_system_sgpr_workgroup_info 0
		.amdhsa_system_vgpr_workitem_id 0
		.amdhsa_next_free_vgpr 136
		.amdhsa_next_free_sgpr 65
		.amdhsa_accum_offset 136
		.amdhsa_reserve_vcc 1
		.amdhsa_reserve_flat_scratch 0
		.amdhsa_float_round_mode_32 0
		.amdhsa_float_round_mode_16_64 0
		.amdhsa_float_denorm_mode_32 3
		.amdhsa_float_denorm_mode_16_64 3
		.amdhsa_dx10_clamp 1
		.amdhsa_ieee_mode 1
		.amdhsa_fp16_overflow 0
		.amdhsa_tg_split 0
		.amdhsa_exception_fp_ieee_invalid_op 0
		.amdhsa_exception_fp_denorm_src 0
		.amdhsa_exception_fp_ieee_div_zero 0
		.amdhsa_exception_fp_ieee_overflow 0
		.amdhsa_exception_fp_ieee_underflow 0
		.amdhsa_exception_fp_ieee_inexact 0
		.amdhsa_exception_int_div_zero 0
	.end_amdhsa_kernel
	.text
.Lfunc_end0:
	.size	fft_rtc_fwd_len289_factors_17_17_wgs_119_tpt_17_dp_op_CI_CI_sbrc_xy_z_diag_dirReg, .Lfunc_end0-fft_rtc_fwd_len289_factors_17_17_wgs_119_tpt_17_dp_op_CI_CI_sbrc_xy_z_diag_dirReg
                                        ; -- End function
	.section	.AMDGPU.csdata,"",@progbits
; Kernel info:
; codeLenInByte = 15728
; NumSgprs: 69
; NumVgprs: 136
; NumAgprs: 0
; TotalNumVgprs: 136
; ScratchSize: 0
; MemoryBound: 0
; FloatMode: 240
; IeeeMode: 1
; LDSByteSize: 0 bytes/workgroup (compile time only)
; SGPRBlocks: 8
; VGPRBlocks: 16
; NumSGPRsForWavesPerEU: 69
; NumVGPRsForWavesPerEU: 136
; AccumOffset: 136
; Occupancy: 3
; WaveLimiterHint : 1
; COMPUTE_PGM_RSRC2:SCRATCH_EN: 0
; COMPUTE_PGM_RSRC2:USER_SGPR: 6
; COMPUTE_PGM_RSRC2:TRAP_HANDLER: 0
; COMPUTE_PGM_RSRC2:TGID_X_EN: 1
; COMPUTE_PGM_RSRC2:TGID_Y_EN: 0
; COMPUTE_PGM_RSRC2:TGID_Z_EN: 0
; COMPUTE_PGM_RSRC2:TIDIG_COMP_CNT: 0
; COMPUTE_PGM_RSRC3_GFX90A:ACCUM_OFFSET: 33
; COMPUTE_PGM_RSRC3_GFX90A:TG_SPLIT: 0
	.text
	.p2alignl 6, 3212836864
	.fill 256, 4, 3212836864
	.type	__hip_cuid_504ec8af7e78ff65,@object ; @__hip_cuid_504ec8af7e78ff65
	.section	.bss,"aw",@nobits
	.globl	__hip_cuid_504ec8af7e78ff65
__hip_cuid_504ec8af7e78ff65:
	.byte	0                               ; 0x0
	.size	__hip_cuid_504ec8af7e78ff65, 1

	.ident	"AMD clang version 19.0.0git (https://github.com/RadeonOpenCompute/llvm-project roc-6.4.0 25133 c7fe45cf4b819c5991fe208aaa96edf142730f1d)"
	.section	".note.GNU-stack","",@progbits
	.addrsig
	.addrsig_sym __hip_cuid_504ec8af7e78ff65
	.amdgpu_metadata
---
amdhsa.kernels:
  - .agpr_count:     0
    .args:
      - .actual_access:  read_only
        .address_space:  global
        .offset:         0
        .size:           8
        .value_kind:     global_buffer
      - .offset:         8
        .size:           8
        .value_kind:     by_value
      - .actual_access:  read_only
        .address_space:  global
        .offset:         16
        .size:           8
        .value_kind:     global_buffer
      - .actual_access:  read_only
        .address_space:  global
        .offset:         24
        .size:           8
        .value_kind:     global_buffer
      - .actual_access:  read_only
        .address_space:  global
        .offset:         32
        .size:           8
        .value_kind:     global_buffer
      - .offset:         40
        .size:           8
        .value_kind:     by_value
      - .actual_access:  read_only
        .address_space:  global
        .offset:         48
        .size:           8
        .value_kind:     global_buffer
      - .actual_access:  read_only
        .address_space:  global
        .offset:         56
        .size:           8
        .value_kind:     global_buffer
      - .offset:         64
        .size:           4
        .value_kind:     by_value
      - .actual_access:  read_only
        .address_space:  global
        .offset:         72
        .size:           8
        .value_kind:     global_buffer
      - .actual_access:  read_only
        .address_space:  global
        .offset:         80
        .size:           8
        .value_kind:     global_buffer
      - .actual_access:  read_only
        .address_space:  global
        .offset:         88
        .size:           8
        .value_kind:     global_buffer
      - .actual_access:  write_only
        .address_space:  global
        .offset:         96
        .size:           8
        .value_kind:     global_buffer
    .group_segment_fixed_size: 0
    .kernarg_segment_align: 8
    .kernarg_segment_size: 104
    .language:       OpenCL C
    .language_version:
      - 2
      - 0
    .max_flat_workgroup_size: 119
    .name:           fft_rtc_fwd_len289_factors_17_17_wgs_119_tpt_17_dp_op_CI_CI_sbrc_xy_z_diag_dirReg
    .private_segment_fixed_size: 0
    .sgpr_count:     69
    .sgpr_spill_count: 0
    .symbol:         fft_rtc_fwd_len289_factors_17_17_wgs_119_tpt_17_dp_op_CI_CI_sbrc_xy_z_diag_dirReg.kd
    .uniform_work_group_size: 1
    .uses_dynamic_stack: false
    .vgpr_count:     136
    .vgpr_spill_count: 0
    .wavefront_size: 64
amdhsa.target:   amdgcn-amd-amdhsa--gfx90a
amdhsa.version:
  - 1
  - 2
...

	.end_amdgpu_metadata
